;; amdgpu-corpus repo=ROCm/rocFFT kind=compiled arch=gfx950 opt=O3
	.text
	.amdgcn_target "amdgcn-amd-amdhsa--gfx950"
	.amdhsa_code_object_version 6
	.protected	fft_rtc_back_len2401_factors_7_7_7_7_wgs_49_tpt_49_halfLds_sp_ip_CI_sbrr_dirReg ; -- Begin function fft_rtc_back_len2401_factors_7_7_7_7_wgs_49_tpt_49_halfLds_sp_ip_CI_sbrr_dirReg
	.globl	fft_rtc_back_len2401_factors_7_7_7_7_wgs_49_tpt_49_halfLds_sp_ip_CI_sbrr_dirReg
	.p2align	8
	.type	fft_rtc_back_len2401_factors_7_7_7_7_wgs_49_tpt_49_halfLds_sp_ip_CI_sbrr_dirReg,@function
fft_rtc_back_len2401_factors_7_7_7_7_wgs_49_tpt_49_halfLds_sp_ip_CI_sbrr_dirReg: ; @fft_rtc_back_len2401_factors_7_7_7_7_wgs_49_tpt_49_halfLds_sp_ip_CI_sbrr_dirReg
; %bb.0:
	s_load_dwordx2 s[12:13], s[0:1], 0x18
	s_load_dwordx4 s[4:7], s[0:1], 0x0
	s_load_dwordx2 s[10:11], s[0:1], 0x50
	v_mul_u32_u24_e32 v1, 0x53a, v0
	v_add_u32_sdwa v6, s2, v1 dst_sel:DWORD dst_unused:UNUSED_PAD src0_sel:DWORD src1_sel:WORD_1
	s_waitcnt lgkmcnt(0)
	s_load_dwordx2 s[8:9], s[12:13], 0x0
	v_mov_b32_e32 v4, 0
	v_cmp_lt_u64_e64 s[2:3], s[6:7], 2
	v_mov_b32_e32 v7, v4
	s_and_b64 vcc, exec, s[2:3]
	v_mov_b64_e32 v[2:3], 0
	s_cbranch_vccnz .LBB0_8
; %bb.1:
	s_load_dwordx2 s[2:3], s[0:1], 0x10
	s_add_u32 s14, s12, 8
	s_addc_u32 s15, s13, 0
	s_mov_b64 s[16:17], 1
	v_mov_b64_e32 v[2:3], 0
	s_waitcnt lgkmcnt(0)
	s_add_u32 s18, s2, 8
	s_addc_u32 s19, s3, 0
.LBB0_2:                                ; =>This Inner Loop Header: Depth=1
	s_load_dwordx2 s[20:21], s[18:19], 0x0
                                        ; implicit-def: $vgpr8_vgpr9
	s_waitcnt lgkmcnt(0)
	v_or_b32_e32 v5, s21, v7
	v_cmp_ne_u64_e32 vcc, 0, v[4:5]
	s_and_saveexec_b64 s[2:3], vcc
	s_xor_b64 s[22:23], exec, s[2:3]
	s_cbranch_execz .LBB0_4
; %bb.3:                                ;   in Loop: Header=BB0_2 Depth=1
	v_cvt_f32_u32_e32 v1, s20
	v_cvt_f32_u32_e32 v5, s21
	s_sub_u32 s2, 0, s20
	s_subb_u32 s3, 0, s21
	v_fmac_f32_e32 v1, 0x4f800000, v5
	v_rcp_f32_e32 v1, v1
	s_nop 0
	v_mul_f32_e32 v1, 0x5f7ffffc, v1
	v_mul_f32_e32 v5, 0x2f800000, v1
	v_trunc_f32_e32 v5, v5
	v_fmac_f32_e32 v1, 0xcf800000, v5
	v_cvt_u32_f32_e32 v5, v5
	v_cvt_u32_f32_e32 v1, v1
	v_mul_lo_u32 v8, s2, v5
	v_mul_hi_u32 v10, s2, v1
	v_mul_lo_u32 v9, s3, v1
	v_add_u32_e32 v10, v10, v8
	v_mul_lo_u32 v12, s2, v1
	v_add_u32_e32 v13, v10, v9
	v_mul_hi_u32 v8, v1, v12
	v_mul_hi_u32 v11, v1, v13
	v_mul_lo_u32 v10, v1, v13
	v_mov_b32_e32 v9, v4
	v_lshl_add_u64 v[8:9], v[8:9], 0, v[10:11]
	v_mul_hi_u32 v11, v5, v12
	v_mul_lo_u32 v12, v5, v12
	v_add_co_u32_e32 v8, vcc, v8, v12
	v_mul_hi_u32 v10, v5, v13
	s_nop 0
	v_addc_co_u32_e32 v8, vcc, v9, v11, vcc
	v_mov_b32_e32 v9, v4
	s_nop 0
	v_addc_co_u32_e32 v11, vcc, 0, v10, vcc
	v_mul_lo_u32 v10, v5, v13
	v_lshl_add_u64 v[8:9], v[8:9], 0, v[10:11]
	v_add_co_u32_e32 v1, vcc, v1, v8
	v_mul_lo_u32 v10, s2, v1
	s_nop 0
	v_addc_co_u32_e32 v5, vcc, v5, v9, vcc
	v_mul_lo_u32 v8, s2, v5
	v_mul_hi_u32 v9, s2, v1
	v_add_u32_e32 v8, v9, v8
	v_mul_lo_u32 v9, s3, v1
	v_add_u32_e32 v12, v8, v9
	v_mul_hi_u32 v14, v5, v10
	v_mul_lo_u32 v15, v5, v10
	v_mul_hi_u32 v9, v1, v12
	v_mul_lo_u32 v8, v1, v12
	v_mul_hi_u32 v10, v1, v10
	v_mov_b32_e32 v11, v4
	v_lshl_add_u64 v[8:9], v[10:11], 0, v[8:9]
	v_add_co_u32_e32 v8, vcc, v8, v15
	v_mul_hi_u32 v13, v5, v12
	s_nop 0
	v_addc_co_u32_e32 v8, vcc, v9, v14, vcc
	v_mul_lo_u32 v10, v5, v12
	s_nop 0
	v_addc_co_u32_e32 v11, vcc, 0, v13, vcc
	v_mov_b32_e32 v9, v4
	v_lshl_add_u64 v[8:9], v[8:9], 0, v[10:11]
	v_add_co_u32_e32 v1, vcc, v1, v8
	v_mul_hi_u32 v10, v6, v1
	s_nop 0
	v_addc_co_u32_e32 v5, vcc, v5, v9, vcc
	v_mad_u64_u32 v[8:9], s[2:3], v6, v5, 0
	v_mov_b32_e32 v11, v4
	v_lshl_add_u64 v[8:9], v[10:11], 0, v[8:9]
	v_mad_u64_u32 v[12:13], s[2:3], v7, v1, 0
	v_add_co_u32_e32 v1, vcc, v8, v12
	v_mad_u64_u32 v[10:11], s[2:3], v7, v5, 0
	s_nop 0
	v_addc_co_u32_e32 v8, vcc, v9, v13, vcc
	v_mov_b32_e32 v9, v4
	s_nop 0
	v_addc_co_u32_e32 v11, vcc, 0, v11, vcc
	v_lshl_add_u64 v[8:9], v[8:9], 0, v[10:11]
	v_mul_lo_u32 v1, s21, v8
	v_mul_lo_u32 v5, s20, v9
	v_mad_u64_u32 v[10:11], s[2:3], s20, v8, 0
	v_add3_u32 v1, v11, v5, v1
	v_sub_u32_e32 v5, v7, v1
	v_mov_b32_e32 v11, s21
	v_sub_co_u32_e32 v14, vcc, v6, v10
	v_lshl_add_u64 v[12:13], v[8:9], 0, 1
	s_nop 0
	v_subb_co_u32_e64 v5, s[2:3], v5, v11, vcc
	v_subrev_co_u32_e64 v10, s[2:3], s20, v14
	v_subb_co_u32_e32 v1, vcc, v7, v1, vcc
	s_nop 0
	v_subbrev_co_u32_e64 v5, s[2:3], 0, v5, s[2:3]
	v_cmp_le_u32_e64 s[2:3], s21, v5
	v_cmp_le_u32_e32 vcc, s21, v1
	s_nop 0
	v_cndmask_b32_e64 v11, 0, -1, s[2:3]
	v_cmp_le_u32_e64 s[2:3], s20, v10
	s_nop 1
	v_cndmask_b32_e64 v10, 0, -1, s[2:3]
	v_cmp_eq_u32_e64 s[2:3], s21, v5
	s_nop 1
	v_cndmask_b32_e64 v5, v11, v10, s[2:3]
	v_lshl_add_u64 v[10:11], v[8:9], 0, 2
	v_cmp_ne_u32_e64 s[2:3], 0, v5
	s_nop 1
	v_cndmask_b32_e64 v5, v13, v11, s[2:3]
	v_cndmask_b32_e64 v11, 0, -1, vcc
	v_cmp_le_u32_e32 vcc, s20, v14
	s_nop 1
	v_cndmask_b32_e64 v13, 0, -1, vcc
	v_cmp_eq_u32_e32 vcc, s21, v1
	s_nop 1
	v_cndmask_b32_e32 v1, v11, v13, vcc
	v_cmp_ne_u32_e32 vcc, 0, v1
	v_cndmask_b32_e64 v1, v12, v10, s[2:3]
	s_nop 0
	v_cndmask_b32_e32 v9, v9, v5, vcc
	v_cndmask_b32_e32 v8, v8, v1, vcc
.LBB0_4:                                ;   in Loop: Header=BB0_2 Depth=1
	s_andn2_saveexec_b64 s[2:3], s[22:23]
	s_cbranch_execz .LBB0_6
; %bb.5:                                ;   in Loop: Header=BB0_2 Depth=1
	v_cvt_f32_u32_e32 v1, s20
	s_sub_i32 s22, 0, s20
	v_rcp_iflag_f32_e32 v1, v1
	s_nop 0
	v_mul_f32_e32 v1, 0x4f7ffffe, v1
	v_cvt_u32_f32_e32 v1, v1
	v_mul_lo_u32 v5, s22, v1
	v_mul_hi_u32 v5, v1, v5
	v_add_u32_e32 v1, v1, v5
	v_mul_hi_u32 v1, v6, v1
	v_mul_lo_u32 v5, v1, s20
	v_sub_u32_e32 v5, v6, v5
	v_add_u32_e32 v8, 1, v1
	v_subrev_u32_e32 v9, s20, v5
	v_cmp_le_u32_e32 vcc, s20, v5
	s_nop 1
	v_cndmask_b32_e32 v5, v5, v9, vcc
	v_cndmask_b32_e32 v1, v1, v8, vcc
	v_add_u32_e32 v8, 1, v1
	v_cmp_le_u32_e32 vcc, s20, v5
	v_mov_b32_e32 v9, v4
	s_nop 0
	v_cndmask_b32_e32 v8, v1, v8, vcc
.LBB0_6:                                ;   in Loop: Header=BB0_2 Depth=1
	s_or_b64 exec, exec, s[2:3]
	v_mad_u64_u32 v[10:11], s[2:3], v8, s20, 0
	s_load_dwordx2 s[2:3], s[14:15], 0x0
	v_mul_lo_u32 v1, v9, s20
	v_mul_lo_u32 v5, v8, s21
	v_add3_u32 v1, v11, v5, v1
	v_sub_co_u32_e32 v5, vcc, v6, v10
	s_add_u32 s16, s16, 1
	s_nop 0
	v_subb_co_u32_e32 v1, vcc, v7, v1, vcc
	s_addc_u32 s17, s17, 0
	s_waitcnt lgkmcnt(0)
	v_mul_lo_u32 v1, s2, v1
	v_mul_lo_u32 v6, s3, v5
	v_mad_u64_u32 v[2:3], s[2:3], s2, v5, v[2:3]
	s_add_u32 s14, s14, 8
	v_add3_u32 v3, v6, v3, v1
	s_addc_u32 s15, s15, 0
	v_mov_b64_e32 v[6:7], s[6:7]
	s_add_u32 s18, s18, 8
	v_cmp_ge_u64_e32 vcc, s[16:17], v[6:7]
	s_addc_u32 s19, s19, 0
	s_cbranch_vccnz .LBB0_9
; %bb.7:                                ;   in Loop: Header=BB0_2 Depth=1
	v_mov_b64_e32 v[6:7], v[8:9]
	s_branch .LBB0_2
.LBB0_8:
	v_mov_b64_e32 v[8:9], v[6:7]
.LBB0_9:
	s_lshl_b64 s[2:3], s[6:7], 3
	s_add_u32 s2, s12, s2
	s_addc_u32 s3, s13, s3
	s_load_dwordx2 s[6:7], s[2:3], 0x0
	s_load_dwordx2 s[12:13], s[0:1], 0x20
	s_mov_b32 s2, 0x539782a
                                        ; implicit-def: $vgpr165
                                        ; implicit-def: $vgpr107
                                        ; implicit-def: $vgpr115
                                        ; implicit-def: $vgpr119
                                        ; implicit-def: $vgpr101
                                        ; implicit-def: $vgpr163
	s_waitcnt lgkmcnt(0)
	v_mul_lo_u32 v1, s6, v9
	v_mul_lo_u32 v4, s7, v8
	v_mad_u64_u32 v[2:3], s[0:1], s6, v8, v[2:3]
	v_add3_u32 v3, v4, v3, v1
	v_mul_hi_u32 v1, v0, s2
	v_mul_u32_u24_e32 v1, 49, v1
	v_sub_u32_e32 v159, v0, v1
	v_cmp_gt_u64_e32 vcc, s[12:13], v[8:9]
	v_cmp_le_u64_e64 s[0:1], s[12:13], v[8:9]
	v_add_u32_e32 v121, 49, v159
                                        ; implicit-def: $sgpr2_sgpr3
	s_and_saveexec_b64 s[6:7], s[0:1]
	s_xor_b64 s[0:1], exec, s[6:7]
; %bb.10:
	v_add_u32_e32 v165, 49, v159
	v_add_u32_e32 v107, 0x62, v159
	;; [unrolled: 1-line block ×6, first 2 shown]
	s_mov_b64 s[2:3], 0
; %bb.11:
	s_or_saveexec_b64 s[0:1], s[0:1]
	v_mov_b64_e32 v[74:75], s[2:3]
	v_lshl_add_u64 v[40:41], v[2:3], 3, s[10:11]
	v_mov_b64_e32 v[80:81], s[2:3]
	v_mov_b64_e32 v[78:79], s[2:3]
	;; [unrolled: 1-line block ×27, first 2 shown]
                                        ; implicit-def: $vgpr104
                                        ; implicit-def: $vgpr8
                                        ; implicit-def: $vgpr94
                                        ; implicit-def: $vgpr54
                                        ; implicit-def: $vgpr10
                                        ; implicit-def: $vgpr52
                                        ; implicit-def: $vgpr64
                                        ; implicit-def: $vgpr16
                                        ; implicit-def: $vgpr58
                                        ; implicit-def: $vgpr72
                                        ; implicit-def: $vgpr22
                                        ; implicit-def: $vgpr70
                                        ; implicit-def: $vgpr84
                                        ; implicit-def: $vgpr28
                                        ; implicit-def: $vgpr82
                                        ; implicit-def: $vgpr88
                                        ; implicit-def: $vgpr56
                                        ; implicit-def: $vgpr86
                                        ; implicit-def: $vgpr96
                                        ; implicit-def: $vgpr92
                                        ; implicit-def: $vgpr90
	s_xor_b64 exec, exec, s[0:1]
	s_cbranch_execz .LBB0_13
; %bb.12:
	v_mad_u64_u32 v[0:1], s[2:3], s8, v159, 0
	v_mov_b32_e32 v2, v1
	v_mad_u64_u32 v[2:3], s[2:3], s9, v159, v[2:3]
	v_add_u32_e32 v5, 0x157, v159
	v_mov_b32_e32 v1, v2
	v_mad_u64_u32 v[2:3], s[2:3], s8, v5, 0
	v_mov_b32_e32 v4, v3
	v_mad_u64_u32 v[4:5], s[2:3], s9, v5, v[4:5]
	v_add_u32_e32 v7, 0x2ae, v159
	v_mov_b32_e32 v3, v4
	v_mad_u64_u32 v[4:5], s[2:3], s8, v7, 0
	v_mov_b32_e32 v6, v5
	v_mad_u64_u32 v[6:7], s[2:3], s9, v7, v[6:7]
	v_add_u32_e32 v7, 0x405, v159
	v_mad_u64_u32 v[8:9], s[2:3], s8, v7, 0
	v_mov_b32_e32 v5, v6
	v_mov_b32_e32 v6, v9
	v_mad_u64_u32 v[6:7], s[2:3], s9, v7, v[6:7]
	v_add_u32_e32 v11, 0x55c, v159
	v_mov_b32_e32 v9, v6
	v_mad_u64_u32 v[6:7], s[2:3], s8, v11, 0
	v_mov_b32_e32 v10, v7
	v_mad_u64_u32 v[10:11], s[2:3], s9, v11, v[10:11]
	v_add_u32_e32 v13, 0x6b3, v159
	v_mov_b32_e32 v7, v10
	v_mad_u64_u32 v[10:11], s[2:3], s8, v13, 0
	;; [unrolled: 5-line block ×3, first 2 shown]
	v_mov_b32_e32 v14, v13
	v_mad_u64_u32 v[14:15], s[2:3], s9, v15, v[14:15]
	v_mad_u64_u32 v[16:17], s[2:3], s8, v121, 0
	v_mov_b32_e32 v13, v14
	v_mov_b32_e32 v14, v17
	v_mad_u64_u32 v[14:15], s[2:3], s9, v121, v[14:15]
	v_add_u32_e32 v19, 0x188, v159
	v_mov_b32_e32 v17, v14
	v_mad_u64_u32 v[14:15], s[2:3], s8, v19, 0
	v_mov_b32_e32 v18, v15
	v_mad_u64_u32 v[18:19], s[2:3], s9, v19, v[18:19]
	v_add_u32_e32 v21, 0x2df, v159
	v_mov_b32_e32 v15, v18
	v_mad_u64_u32 v[18:19], s[2:3], s8, v21, 0
	;; [unrolled: 5-line block ×3, first 2 shown]
	v_mov_b32_e32 v22, v21
	v_mad_u64_u32 v[22:23], s[2:3], s9, v23, v[22:23]
	v_add_u32_e32 v23, 0x58d, v159
	v_mad_u64_u32 v[24:25], s[2:3], s8, v23, 0
	v_mov_b32_e32 v21, v22
	v_mov_b32_e32 v22, v25
	v_mad_u64_u32 v[22:23], s[2:3], s9, v23, v[22:23]
	v_add_u32_e32 v27, 0x6e4, v159
	v_mov_b32_e32 v25, v22
	v_mad_u64_u32 v[22:23], s[2:3], s8, v27, 0
	v_mov_b32_e32 v26, v23
	v_mad_u64_u32 v[26:27], s[2:3], s9, v27, v[26:27]
	v_add_u32_e32 v29, 0x83b, v159
	v_mov_b32_e32 v23, v26
	v_mad_u64_u32 v[26:27], s[2:3], s8, v29, 0
	;; [unrolled: 5-line block ×3, first 2 shown]
	v_mov_b32_e32 v30, v29
	v_mad_u64_u32 v[30:31], s[2:3], s9, v107, v[30:31]
	v_add_u32_e32 v31, 0x1b9, v159
	v_mad_u64_u32 v[36:37], s[2:3], s8, v31, 0
	v_mov_b32_e32 v29, v30
	v_mov_b32_e32 v30, v37
	v_mad_u64_u32 v[30:31], s[2:3], s9, v31, v[30:31]
	v_add_u32_e32 v31, 0x310, v159
	v_mad_u64_u32 v[34:35], s[2:3], s8, v31, 0
	v_mov_b32_e32 v37, v30
	v_mov_b32_e32 v30, v35
	v_mad_u64_u32 v[30:31], s[2:3], s9, v31, v[30:31]
	v_add_u32_e32 v31, 0x467, v159
	v_mad_u64_u32 v[38:39], s[2:3], s8, v31, 0
	v_mov_b32_e32 v35, v30
	v_mov_b32_e32 v30, v39
	v_mad_u64_u32 v[30:31], s[2:3], s9, v31, v[30:31]
	v_add_u32_e32 v31, 0x5be, v159
	v_mad_u64_u32 v[42:43], s[2:3], s8, v31, 0
	v_mov_b32_e32 v39, v30
	v_mov_b32_e32 v30, v43
	v_mad_u64_u32 v[30:31], s[2:3], s9, v31, v[30:31]
	v_add_u32_e32 v31, 0x715, v159
	v_mad_u64_u32 v[46:47], s[2:3], s8, v31, 0
	v_mov_b32_e32 v43, v30
	v_mov_b32_e32 v30, v47
	v_mad_u64_u32 v[30:31], s[2:3], s9, v31, v[30:31]
	v_add_u32_e32 v31, 0x86c, v159
	v_mad_u64_u32 v[44:45], s[2:3], s8, v31, 0
	v_mov_b32_e32 v47, v30
	v_mov_b32_e32 v30, v45
	v_add_u32_e32 v115, 0x93, v159
	v_mad_u64_u32 v[30:31], s[2:3], s9, v31, v[30:31]
	v_mad_u64_u32 v[48:49], s[2:3], s8, v115, 0
	v_mov_b32_e32 v45, v30
	v_mov_b32_e32 v30, v49
	v_mad_u64_u32 v[30:31], s[2:3], s9, v115, v[30:31]
	v_add_u32_e32 v31, 0x1ea, v159
	v_mad_u64_u32 v[50:51], s[2:3], s8, v31, 0
	v_mov_b32_e32 v49, v30
	v_mov_b32_e32 v30, v51
	v_mad_u64_u32 v[30:31], s[2:3], s9, v31, v[30:31]
	v_add_u32_e32 v31, 0x341, v159
	v_mad_u64_u32 v[54:55], s[2:3], s8, v31, 0
	v_mov_b32_e32 v51, v30
	v_mov_b32_e32 v30, v55
	v_mad_u64_u32 v[30:31], s[2:3], s9, v31, v[30:31]
	v_add_u32_e32 v31, 0x498, v159
	v_mad_u64_u32 v[52:53], s[2:3], s8, v31, 0
	v_mov_b32_e32 v55, v30
	v_mov_b32_e32 v30, v53
	v_mad_u64_u32 v[30:31], s[2:3], s9, v31, v[30:31]
	v_add_u32_e32 v31, 0x5ef, v159
	v_mad_u64_u32 v[58:59], s[2:3], s8, v31, 0
	v_mov_b32_e32 v53, v30
	v_mov_b32_e32 v30, v59
	v_mad_u64_u32 v[30:31], s[2:3], s9, v31, v[30:31]
	v_add_u32_e32 v31, 0x746, v159
	v_mad_u64_u32 v[64:65], s[2:3], s8, v31, 0
	v_mov_b32_e32 v59, v30
	v_mov_b32_e32 v30, v65
	v_mad_u64_u32 v[30:31], s[2:3], s9, v31, v[30:31]
	v_add_u32_e32 v31, 0x89d, v159
	v_mad_u64_u32 v[70:71], s[2:3], s8, v31, 0
	v_mov_b32_e32 v65, v30
	v_mov_b32_e32 v30, v71
	v_add_u32_e32 v119, 0xc4, v159
	v_mad_u64_u32 v[30:31], s[2:3], s9, v31, v[30:31]
	v_mad_u64_u32 v[94:95], s[2:3], s8, v119, 0
	v_mov_b32_e32 v71, v30
	;; [unrolled: 35-line block ×4, first 2 shown]
	v_mov_b32_e32 v30, v135
	v_mad_u64_u32 v[30:31], s[2:3], s9, v163, v[30:31]
	v_add_u32_e32 v31, 0x27d, v159
	v_mad_u64_u32 v[136:137], s[2:3], s8, v31, 0
	v_mov_b32_e32 v135, v30
	v_mov_b32_e32 v30, v137
	v_mad_u64_u32 v[30:31], s[2:3], s9, v31, v[30:31]
	v_add_u32_e32 v31, 0x3d4, v159
	v_mad_u64_u32 v[138:139], s[2:3], s8, v31, 0
	v_mov_b32_e32 v137, v30
	;; [unrolled: 5-line block ×6, first 2 shown]
	v_mov_b32_e32 v30, v147
	v_lshl_add_u64 v[0:1], v[0:1], 3, v[40:41]
	v_lshl_add_u64 v[2:3], v[2:3], 3, v[40:41]
	v_mad_u64_u32 v[30:31], s[2:3], s9, v31, v[30:31]
	v_lshl_add_u64 v[4:5], v[4:5], 3, v[40:41]
	v_lshl_add_u64 v[8:9], v[8:9], 3, v[40:41]
	global_load_dwordx2 v[76:77], v[0:1], off
	global_load_dwordx2 v[74:75], v[2:3], off
	global_load_dwordx2 v[80:81], v[4:5], off
	global_load_dwordx2 v[90:91], v[8:9], off
	v_lshl_add_u64 v[0:1], v[6:7], 3, v[40:41]
	v_lshl_add_u64 v[2:3], v[10:11], 3, v[40:41]
	v_mov_b32_e32 v147, v30
	v_lshl_add_u64 v[4:5], v[12:13], 3, v[40:41]
	v_lshl_add_u64 v[6:7], v[16:17], 3, v[40:41]
	global_load_dwordx2 v[78:79], v[0:1], off
	global_load_dwordx2 v[92:93], v[2:3], off
	global_load_dwordx2 v[96:97], v[4:5], off
	global_load_dwordx2 v[30:31], v[6:7], off
	v_lshl_add_u64 v[0:1], v[14:15], 3, v[40:41]
	v_lshl_add_u64 v[2:3], v[18:19], 3, v[40:41]
	v_lshl_add_u64 v[4:5], v[20:21], 3, v[40:41]
	v_lshl_add_u64 v[6:7], v[24:25], 3, v[40:41]
	global_load_dwordx2 v[68:69], v[0:1], off
	global_load_dwordx2 v[32:33], v[2:3], off
	global_load_dwordx2 v[86:87], v[4:5], off
	global_load_dwordx2 v[66:67], v[6:7], off
	v_lshl_add_u64 v[0:1], v[22:23], 3, v[40:41]
	v_lshl_add_u64 v[2:3], v[26:27], 3, v[40:41]
	;; [unrolled: 8-line block ×9, first 2 shown]
	v_lshl_add_u64 v[36:37], v[134:135], 3, v[40:41]
	v_lshl_add_u64 v[94:95], v[136:137], 3, v[40:41]
	v_lshl_add_u64 v[98:99], v[138:139], 3, v[40:41]
	global_load_dwordx2 v[10:11], v[2:3], off
	global_load_dwordx2 v[54:55], v[8:9], off
	global_load_dwordx2 v[6:7], v[36:37], off
	global_load_dwordx2 v[34:35], v[94:95], off
	v_lshl_add_u64 v[102:103], v[140:141], 3, v[40:41]
	v_lshl_add_u64 v[104:105], v[142:143], 3, v[40:41]
	;; [unrolled: 1-line block ×3, first 2 shown]
	global_load_dwordx2 v[2:3], v[98:99], off
	global_load_dwordx2 v[94:95], v[102:103], off
	;; [unrolled: 1-line block ×4, first 2 shown]
	v_lshl_add_u64 v[98:99], v[146:147], 3, v[40:41]
	global_load_dwordx2 v[104:105], v[98:99], off
	v_mov_b32_e32 v165, v121
.LBB0_13:
	s_or_b64 exec, exec, s[0:1]
	s_waitcnt vmcnt(42)
	v_add_f32_e32 v109, v96, v74
	v_add_f32_e32 v99, v97, v75
	v_sub_f32_e32 v74, v74, v96
	v_sub_f32_e32 v75, v75, v97
	;; [unrolled: 1-line block ×4, first 2 shown]
	v_add_f32_e32 v182, v90, v78
	v_add_f32_e32 v118, v91, v79
	v_sub_f32_e32 v78, v78, v90
	v_sub_f32_e32 v79, v79, v91
	;; [unrolled: 1-line block ×5, first 2 shown]
	v_add_f32_e32 v98, v96, v78
	v_add_f32_e32 v100, v97, v79
	v_sub_f32_e32 v96, v96, v74
	v_sub_f32_e32 v97, v97, v75
	v_mul_f32_e32 v122, 0x3f08b237, v102
	v_mul_f32_e32 v180, 0x3f08b237, v103
	s_mov_b32 s2, 0xbf5ff5aa
	v_sub_f32_e32 v90, v109, v182
	v_sub_f32_e32 v78, v74, v78
	;; [unrolled: 1-line block ×3, first 2 shown]
	v_add_f32_e32 v74, v74, v98
	v_add_f32_e32 v75, v75, v100
	v_mul_f32_e32 v116, 0x3f4a47b2, v91
	v_mul_f32_e32 v91, 0xbf5ff5aa, v97
	v_fma_f32 v114, v96, s2, -v122
	v_fma_f32 v174, v97, s2, -v180
	s_mov_b32 s1, 0x3eae86e6
	v_mul_f32_e32 v176, 0x3f4a47b2, v90
	v_mul_f32_e32 v120, 0xbee1c552, v74
	v_mul_f32_e32 v178, 0xbee1c552, v75
	v_mul_f32_e32 v90, 0xbf5ff5aa, v96
	v_fmac_f32_e32 v180, 0xbeae86e6, v79
	v_fma_f32 v181, v79, s1, -v91
	v_fmac_f32_e32 v114, 0xbee1c552, v74
	v_fmac_f32_e32 v174, 0xbee1c552, v75
	s_waitcnt vmcnt(35)
	v_add_f32_e32 v91, v88, v68
	v_add_f32_e32 v79, v89, v69
	v_sub_f32_e32 v68, v68, v88
	v_sub_f32_e32 v69, v69, v89
	;; [unrolled: 1-line block ×4, first 2 shown]
	v_add_f32_e32 v172, v86, v66
	v_add_f32_e32 v106, v87, v67
	v_sub_f32_e32 v66, v66, v86
	v_sub_f32_e32 v67, v67, v87
	v_fmac_f32_e32 v122, 0xbeae86e6, v78
	v_fma_f32 v123, v78, s1, -v90
	v_sub_f32_e32 v78, v91, v172
	v_sub_f32_e32 v86, v79, v106
	v_add_f32_e32 v87, v74, v66
	v_add_f32_e32 v88, v75, v67
	v_sub_f32_e32 v89, v66, v74
	v_sub_f32_e32 v90, v67, v75
	;; [unrolled: 1-line block ×6, first 2 shown]
	v_mul_f32_e32 v166, 0x3f4a47b2, v78
	v_mul_f32_e32 v98, 0x3f4a47b2, v86
	;; [unrolled: 1-line block ×6, first 2 shown]
	v_add_f32_e32 v69, v69, v88
	v_fma_f32 v96, v74, s2, -v102
	v_fmac_f32_e32 v102, 0xbeae86e6, v66
	v_fma_f32 v164, v75, s2, -v170
	v_fmac_f32_e32 v170, 0xbeae86e6, v67
	v_fma_f32 v103, v66, s1, -v78
	v_fma_f32 v171, v67, s1, -v86
	s_waitcnt vmcnt(29)
	v_sub_f32_e32 v66, v26, v28
	v_sub_f32_e32 v67, v27, v29
	v_add_f32_e32 v162, v82, v62
	v_add_f32_e32 v90, v83, v63
	v_sub_f32_e32 v62, v62, v82
	v_sub_f32_e32 v63, v63, v83
	v_add_f32_e32 v68, v68, v87
	v_mul_f32_e32 v168, 0xbee1c552, v69
	v_fmac_f32_e32 v164, 0xbee1c552, v69
	s_waitcnt vmcnt(28)
	v_add_f32_e32 v87, v84, v60
	v_add_f32_e32 v69, v85, v61
	v_sub_f32_e32 v60, v60, v84
	v_sub_f32_e32 v61, v61, v85
	;; [unrolled: 1-line block ×4, first 2 shown]
	v_add_f32_e32 v75, v66, v62
	v_add_f32_e32 v78, v67, v63
	v_sub_f32_e32 v66, v66, v60
	v_sub_f32_e32 v67, v67, v61
	v_mul_f32_e32 v88, 0x3f08b237, v82
	v_mul_f32_e32 v160, 0x3f08b237, v83
	v_sub_f32_e32 v74, v69, v90
	v_sub_f32_e32 v62, v60, v62
	;; [unrolled: 1-line block ×3, first 2 shown]
	v_add_f32_e32 v60, v60, v75
	v_add_f32_e32 v61, v61, v78
	v_fma_f32 v82, v66, s2, -v88
	v_fma_f32 v154, v67, s2, -v160
	v_mul_f32_e32 v100, 0xbee1c552, v68
	v_fmac_f32_e32 v96, 0xbee1c552, v68
	v_sub_f32_e32 v68, v87, v162
	v_mul_f32_e32 v84, 0x3f4a47b2, v74
	v_mul_f32_e32 v86, 0xbee1c552, v60
	v_mul_f32_e32 v158, 0xbee1c552, v61
	v_mul_f32_e32 v74, 0xbf5ff5aa, v67
	v_fmac_f32_e32 v82, 0xbee1c552, v60
	v_fmac_f32_e32 v154, 0xbee1c552, v61
	s_waitcnt vmcnt(22)
	v_sub_f32_e32 v60, v20, v22
	v_sub_f32_e32 v61, v21, v23
	v_add_f32_e32 v152, v70, v50
	v_add_f32_e32 v78, v71, v51
	v_sub_f32_e32 v50, v50, v70
	v_sub_f32_e32 v51, v51, v71
	v_mul_f32_e32 v156, 0x3f4a47b2, v68
	v_mul_f32_e32 v68, 0xbf5ff5aa, v66
	v_fmac_f32_e32 v160, 0xbeae86e6, v63
	v_fma_f32 v161, v63, s1, -v74
	s_waitcnt vmcnt(21)
	v_add_f32_e32 v67, v72, v48
	v_add_f32_e32 v63, v73, v49
	v_sub_f32_e32 v48, v48, v72
	v_sub_f32_e32 v49, v49, v73
	v_sub_f32_e32 v71, v50, v60
	v_sub_f32_e32 v73, v51, v61
	v_fma_f32 v89, v62, s1, -v68
	v_sub_f32_e32 v66, v63, v78
	v_add_f32_e32 v68, v60, v50
	v_add_f32_e32 v70, v61, v51
	v_sub_f32_e32 v60, v60, v48
	v_sub_f32_e32 v61, v61, v49
	v_mul_f32_e32 v74, 0x3f08b237, v71
	v_mul_f32_e32 v150, 0x3f08b237, v73
	v_sub_f32_e32 v50, v48, v50
	v_sub_f32_e32 v51, v49, v51
	v_add_f32_e32 v48, v48, v68
	v_add_f32_e32 v49, v49, v70
	v_mul_f32_e32 v70, 0x3f4a47b2, v66
	v_mul_f32_e32 v66, 0xbf5ff5aa, v61
	v_fma_f32 v68, v60, s2, -v74
	v_fma_f32 v144, v61, s2, -v150
	v_mul_f32_e32 v72, 0xbee1c552, v48
	v_mul_f32_e32 v148, 0xbee1c552, v49
	v_fma_f32 v151, v51, s1, -v66
	v_fmac_f32_e32 v68, 0xbee1c552, v48
	v_fmac_f32_e32 v144, 0xbee1c552, v49
	s_waitcnt vmcnt(15)
	v_sub_f32_e32 v48, v14, v16
	v_sub_f32_e32 v49, v15, v17
	v_add_f32_e32 v142, v58, v46
	v_add_f32_e32 v66, v59, v47
	v_sub_f32_e32 v46, v46, v58
	v_sub_f32_e32 v47, v47, v59
	v_fmac_f32_e32 v88, 0xbeae86e6, v62
	v_sub_f32_e32 v62, v67, v152
	v_fmac_f32_e32 v150, 0xbeae86e6, v51
	s_waitcnt vmcnt(14)
	v_add_f32_e32 v51, v64, v44
	v_add_f32_e32 v61, v65, v45
	v_sub_f32_e32 v44, v44, v64
	v_sub_f32_e32 v45, v45, v65
	;; [unrolled: 1-line block ×4, first 2 shown]
	v_mul_f32_e32 v146, 0x3f4a47b2, v62
	v_mul_f32_e32 v62, 0xbf5ff5aa, v60
	v_sub_f32_e32 v58, v61, v66
	v_add_f32_e32 v59, v48, v46
	v_add_f32_e32 v60, v49, v47
	v_sub_f32_e32 v48, v48, v44
	v_sub_f32_e32 v49, v49, v45
	v_mul_f32_e32 v64, 0x3f08b237, v64
	v_mul_f32_e32 v140, 0x3f08b237, v65
	v_sub_f32_e32 v46, v44, v46
	v_sub_f32_e32 v47, v45, v47
	v_add_f32_e32 v44, v44, v59
	v_add_f32_e32 v45, v45, v60
	v_mul_f32_e32 v60, 0x3f4a47b2, v58
	v_fma_f32 v58, v48, s2, -v64
	v_fma_f32 v134, v49, s2, -v140
	v_fmac_f32_e32 v74, 0xbeae86e6, v50
	v_fma_f32 v75, v50, s1, -v62
	v_sub_f32_e32 v50, v51, v142
	v_mul_f32_e32 v62, 0xbee1c552, v44
	v_mul_f32_e32 v138, 0xbee1c552, v45
	;; [unrolled: 1-line block ×3, first 2 shown]
	v_fmac_f32_e32 v58, 0xbee1c552, v44
	v_fmac_f32_e32 v134, 0xbee1c552, v45
	s_waitcnt vmcnt(7)
	v_add_f32_e32 v49, v54, v42
	v_sub_f32_e32 v42, v42, v54
	v_sub_f32_e32 v44, v4, v10
	v_sub_f32_e32 v45, v5, v11
	v_add_f32_e32 v132, v52, v38
	v_add_f32_e32 v54, v53, v39
	v_sub_f32_e32 v38, v38, v52
	v_sub_f32_e32 v39, v39, v53
	v_mul_f32_e32 v136, 0x3f4a47b2, v50
	v_mul_f32_e32 v50, 0xbf5ff5aa, v48
	v_fmac_f32_e32 v140, 0xbeae86e6, v47
	v_fma_f32 v141, v47, s1, -v59
	v_add_f32_e32 v47, v55, v43
	v_sub_f32_e32 v43, v43, v55
	v_add_f32_e32 v52, v45, v39
	v_sub_f32_e32 v53, v38, v44
	v_fmac_f32_e32 v64, 0xbeae86e6, v46
	v_fma_f32 v65, v46, s1, -v50
	v_sub_f32_e32 v46, v49, v132
	v_sub_f32_e32 v48, v47, v54
	v_add_f32_e32 v50, v44, v38
	v_sub_f32_e32 v55, v39, v45
	v_sub_f32_e32 v39, v43, v39
	;; [unrolled: 1-line block ×4, first 2 shown]
	v_add_f32_e32 v43, v43, v52
	v_mul_f32_e32 v52, 0x3f08b237, v53
	v_sub_f32_e32 v38, v42, v38
	v_add_f32_e32 v42, v42, v50
	v_mul_f32_e32 v126, 0x3f4a47b2, v46
	v_mul_f32_e32 v46, 0x3f4a47b2, v48
	;; [unrolled: 1-line block ×5, first 2 shown]
	v_fma_f32 v48, v44, s2, -v52
	v_add_f32_e32 v184, v92, v80
	v_mul_f32_e32 v50, 0xbee1c552, v42
	v_fmac_f32_e32 v52, 0xbeae86e6, v38
	v_fma_f32 v124, v45, s2, -v130
	v_fmac_f32_e32 v130, 0xbeae86e6, v39
	v_fma_f32 v53, v38, s1, -v53
	v_fma_f32 v131, v39, s1, -v55
	v_fmac_f32_e32 v48, 0xbee1c552, v42
	s_waitcnt vmcnt(0)
	v_add_f32_e32 v39, v105, v35
	v_sub_f32_e32 v35, v35, v105
	v_sub_f32_e32 v38, v2, v8
	;; [unrolled: 1-line block ×3, first 2 shown]
	v_add_f32_e32 v112, v94, v36
	v_add_f32_e32 v44, v95, v37
	v_sub_f32_e32 v36, v36, v94
	v_sub_f32_e32 v37, v37, v95
	v_add_f32_e32 v185, v109, v184
	v_add_f32_e32 v45, v104, v34
	v_sub_f32_e32 v34, v34, v104
	v_sub_f32_e32 v55, v39, v44
	v_add_f32_e32 v59, v38, v36
	v_sub_f32_e32 v83, v37, v42
	v_sub_f32_e32 v94, v42, v35
	v_pk_add_f32 v[186:187], v[182:183], v[184:185] neg_lo:[0,1] neg_hi:[0,1]
	v_pk_add_f32 v[182:183], v[182:183], v[184:185] op_sel_hi:[0,1]
	s_mov_b32 s14, 0x3d64c772
	v_add_f32_e32 v71, v42, v37
	v_sub_f32_e32 v73, v36, v38
	v_sub_f32_e32 v85, v34, v36
	;; [unrolled: 1-line block ×4, first 2 shown]
	v_add_f32_e32 v59, v34, v59
	v_mul_f32_e32 v34, 0x3f4a47b2, v55
	v_mul_f32_e32 v110, 0x3f08b237, v83
	;; [unrolled: 1-line block ×3, first 2 shown]
	v_mov_b32_e32 v182, v186
	v_add_f32_e32 v177, v183, v76
	s_mov_b32 s15, 0x3f955555
	v_fma_f32 v94, v94, s2, -v110
	v_fmac_f32_e32 v110, 0xbeae86e6, v37
	v_fma_f32 v111, v37, s1, -v55
	v_sub_f32_e32 v37, v184, v109
	v_pk_mul_f32 v[184:185], v[186:187], s[14:15]
	v_pk_fma_f32 v[186:187], v[182:183], s[14:15], v[176:177]
	v_pk_fma_f32 v[182:183], v[182:183], s[14:15], v[176:177] neg_lo:[1,0,0] neg_hi:[1,0,0]
	s_mov_b32 s12, 0x3f3bfb3b
	s_mov_b32 s3, 0xbf3bfb3b
	v_add_f32_e32 v35, v35, v71
	v_mov_b32_e32 v187, v183
	v_fma_f32 v55, v37, s12, -v184
	v_fma_f32 v185, v37, s3, -v176
	v_mov_b32_e32 v184, v183
	v_mul_f32_e32 v108, 0xbee1c552, v35
	v_fmac_f32_e32 v94, 0xbee1c552, v35
	v_mad_u32_u24 v35, v159, 28, 0
	v_add_f32_e32 v76, v55, v183
	v_pk_add_f32 v[182:183], v[186:187], v[184:185]
	v_pk_add_f32 v[178:179], v[180:181], v[178:179] op_sel_hi:[1,0]
	v_mad_i32_i24 v169, v165, 28, 0
	v_pk_add_f32 v[180:181], v[182:183], v[178:179]
	ds_write_b32 v35, v177
	ds_write2_b32 v35, v180, v181 offset0:1 offset1:2
	v_pk_add_f32 v[176:177], v[76:77], v[174:175] neg_lo:[0,1] neg_hi:[0,1]
	v_pk_add_f32 v[174:175], v[76:77], v[174:175]
	ds_write2_b32 v35, v176, v174 offset0:3 offset1:4
	v_pk_add_f32 v[174:175], v[182:183], v[178:179] neg_lo:[0,1] neg_hi:[0,1]
	ds_write2_b32 v35, v175, v174 offset0:5 offset1:6
	v_add_f32_e32 v174, v56, v32
	v_add_f32_e32 v175, v91, v174
	v_pk_add_f32 v[176:177], v[172:173], v[174:175] neg_lo:[0,1] neg_hi:[0,1]
	v_pk_add_f32 v[172:173], v[172:173], v[174:175] op_sel_hi:[0,1]
	v_mov_b32_e32 v172, v176
	v_add_f32_e32 v167, v173, v30
	v_sub_f32_e32 v32, v174, v91
	v_pk_mul_f32 v[174:175], v[176:177], s[14:15]
	v_pk_fma_f32 v[176:177], v[172:173], s[14:15], v[166:167]
	v_pk_fma_f32 v[172:173], v[172:173], s[14:15], v[166:167] neg_lo:[1,0,0] neg_hi:[1,0,0]
	v_fma_f32 v30, v32, s12, -v174
	v_mov_b32_e32 v177, v173
	v_fma_f32 v175, v32, s3, -v166
	v_mov_b32_e32 v174, v173
	v_add_f32_e32 v30, v30, v173
	v_pk_add_f32 v[172:173], v[176:177], v[174:175]
	v_pk_add_f32 v[170:171], v[170:171], v[168:169] op_sel_hi:[1,0]
	v_pk_add_f32 v[160:161], v[160:161], v[158:159] op_sel_hi:[1,0]
	v_pk_add_f32 v[174:175], v[172:173], v[170:171]
	ds_write_b32 v169, v167
	ds_write2_b32 v169, v174, v175 offset0:1 offset1:2
	v_pk_add_f32 v[166:167], v[30:31], v[164:165] neg_lo:[0,1] neg_hi:[0,1]
	v_pk_add_f32 v[174:175], v[30:31], v[164:165]
	ds_write2_b32 v169, v166, v174 offset0:3 offset1:4
	v_pk_add_f32 v[166:167], v[172:173], v[170:171] neg_lo:[0,1] neg_hi:[0,1]
	ds_write2_b32 v169, v167, v166 offset0:5 offset1:6
	v_add_f32_e32 v166, v28, v26
	v_add_f32_e32 v167, v87, v166
	v_sub_f32_e32 v26, v166, v87
	v_pk_add_f32 v[170:171], v[162:163], v[166:167] neg_lo:[0,1] neg_hi:[0,1]
	v_pk_add_f32 v[166:167], v[162:163], v[166:167] op_sel_hi:[0,1]
	v_mov_b32_e32 v166, v170
	v_add_f32_e32 v157, v167, v24
	v_pk_mul_f32 v[170:171], v[170:171], s[14:15]
	v_pk_fma_f32 v[172:173], v[166:167], s[14:15], v[156:157]
	v_pk_fma_f32 v[166:167], v[166:167], s[14:15], v[156:157] neg_lo:[1,0,0] neg_hi:[1,0,0]
	v_fma_f32 v24, v26, s12, -v170
	v_mov_b32_e32 v173, v167
	v_fma_f32 v171, v26, s3, -v156
	v_mov_b32_e32 v170, v167
	v_mad_i32_i24 v164, v107, 28, 0
	v_add_f32_e32 v24, v24, v167
	v_pk_add_f32 v[166:167], v[172:173], v[170:171]
	v_mad_i32_i24 v92, v115, 28, 0
	v_pk_add_f32 v[170:171], v[166:167], v[160:161]
	ds_write_b32 v164, v157
	ds_write2_b32 v164, v170, v171 offset0:1 offset1:2
	v_pk_add_f32 v[156:157], v[24:25], v[154:155] neg_lo:[0,1] neg_hi:[0,1]
	v_pk_add_f32 v[154:155], v[24:25], v[154:155]
	ds_write2_b32 v164, v156, v154 offset0:3 offset1:4
	v_pk_add_f32 v[154:155], v[166:167], v[160:161] neg_lo:[0,1] neg_hi:[0,1]
	ds_write2_b32 v164, v155, v154 offset0:5 offset1:6
	v_add_f32_e32 v154, v22, v20
	v_add_f32_e32 v155, v67, v154
	v_pk_add_f32 v[156:157], v[152:153], v[154:155] neg_lo:[0,1] neg_hi:[0,1]
	v_pk_add_f32 v[152:153], v[152:153], v[154:155] op_sel_hi:[0,1]
	v_mov_b32_e32 v152, v156
	v_add_f32_e32 v147, v153, v18
	v_sub_f32_e32 v20, v154, v67
	v_pk_mul_f32 v[154:155], v[156:157], s[14:15]
	v_pk_fma_f32 v[156:157], v[152:153], s[14:15], v[146:147]
	v_pk_fma_f32 v[152:153], v[152:153], s[14:15], v[146:147] neg_lo:[1,0,0] neg_hi:[1,0,0]
	v_fma_f32 v18, v20, s12, -v154
	v_mov_b32_e32 v157, v153
	v_fma_f32 v155, v20, s3, -v146
	v_mov_b32_e32 v154, v153
	v_add_f32_e32 v18, v18, v153
	v_pk_add_f32 v[152:153], v[156:157], v[154:155]
	v_pk_add_f32 v[148:149], v[150:151], v[148:149] op_sel_hi:[1,0]
	v_mad_i32_i24 v97, v119, 28, 0
	v_pk_add_f32 v[150:151], v[152:153], v[148:149]
	ds_write_b32 v92, v147
	ds_write2_b32 v92, v150, v151 offset0:1 offset1:2
	v_pk_add_f32 v[146:147], v[18:19], v[144:145] neg_lo:[0,1] neg_hi:[0,1]
	v_pk_add_f32 v[144:145], v[18:19], v[144:145]
	ds_write2_b32 v92, v146, v144 offset0:3 offset1:4
	v_pk_add_f32 v[144:145], v[152:153], v[148:149] neg_lo:[0,1] neg_hi:[0,1]
	ds_write2_b32 v92, v145, v144 offset0:5 offset1:6
	v_add_f32_e32 v144, v16, v14
	v_add_f32_e32 v145, v51, v144
	v_pk_add_f32 v[146:147], v[142:143], v[144:145] neg_lo:[0,1] neg_hi:[0,1]
	v_pk_add_f32 v[142:143], v[142:143], v[144:145] op_sel_hi:[0,1]
	v_mov_b32_e32 v142, v146
	v_add_f32_e32 v137, v143, v12
	v_sub_f32_e32 v14, v144, v51
	v_pk_mul_f32 v[144:145], v[146:147], s[14:15]
	v_pk_fma_f32 v[146:147], v[142:143], s[14:15], v[136:137]
	v_pk_fma_f32 v[142:143], v[142:143], s[14:15], v[136:137] neg_lo:[1,0,0] neg_hi:[1,0,0]
	v_fma_f32 v12, v14, s12, -v144
	v_mov_b32_e32 v147, v143
	v_fma_f32 v145, v14, s3, -v136
	v_mov_b32_e32 v144, v143
	v_add_f32_e32 v12, v12, v143
	v_pk_add_f32 v[142:143], v[146:147], v[144:145]
	v_pk_add_f32 v[138:139], v[140:141], v[138:139] op_sel_hi:[1,0]
	v_mul_f32_e32 v128, 0xbee1c552, v43
	v_pk_add_f32 v[140:141], v[142:143], v[138:139]
	ds_write_b32 v97, v137
	ds_write2_b32 v97, v140, v141 offset0:1 offset1:2
	v_pk_add_f32 v[136:137], v[12:13], v[134:135] neg_lo:[0,1] neg_hi:[0,1]
	v_pk_add_f32 v[134:135], v[12:13], v[134:135]
	ds_write2_b32 v97, v136, v134 offset0:3 offset1:4
	v_pk_add_f32 v[134:135], v[142:143], v[138:139] neg_lo:[0,1] neg_hi:[0,1]
	ds_write2_b32 v97, v135, v134 offset0:5 offset1:6
	v_add_f32_e32 v134, v10, v4
	v_add_f32_e32 v135, v49, v134
	v_pk_add_f32 v[136:137], v[132:133], v[134:135] neg_lo:[0,1] neg_hi:[0,1]
	v_pk_add_f32 v[132:133], v[132:133], v[134:135] op_sel_hi:[0,1]
	v_mov_b32_e32 v132, v136
	v_add_f32_e32 v127, v133, v0
	v_sub_f32_e32 v4, v134, v49
	v_pk_mul_f32 v[134:135], v[136:137], s[14:15]
	v_pk_fma_f32 v[136:137], v[132:133], s[14:15], v[126:127]
	v_pk_fma_f32 v[132:133], v[132:133], s[14:15], v[126:127] neg_lo:[1,0,0] neg_hi:[1,0,0]
	v_fma_f32 v0, v4, s12, -v134
	v_mov_b32_e32 v137, v133
	v_fma_f32 v135, v4, s3, -v126
	v_mov_b32_e32 v134, v133
	v_fmac_f32_e32 v124, 0xbee1c552, v43
	v_mad_i32_i24 v156, v101, 28, 0
	v_add_f32_e32 v0, v0, v133
	v_pk_add_f32 v[132:133], v[136:137], v[134:135]
	v_pk_add_f32 v[128:129], v[130:131], v[128:129] op_sel_hi:[1,0]
	v_sub_f32_e32 v43, v45, v112
	v_pk_add_f32 v[130:131], v[132:133], v[128:129]
	ds_write_b32 v156, v127
	ds_write2_b32 v156, v130, v131 offset0:1 offset1:2
	v_pk_add_f32 v[126:127], v[0:1], v[124:125] neg_lo:[0,1] neg_hi:[0,1]
	v_pk_add_f32 v[124:125], v[0:1], v[124:125]
	ds_write2_b32 v156, v126, v124 offset0:3 offset1:4
	v_pk_add_f32 v[124:125], v[132:133], v[128:129] neg_lo:[0,1] neg_hi:[0,1]
	ds_write2_b32 v156, v125, v124 offset0:5 offset1:6
	v_add_f32_e32 v124, v8, v2
	v_add_f32_e32 v125, v45, v124
	v_pk_add_f32 v[126:127], v[112:113], v[124:125] neg_lo:[0,1] neg_hi:[0,1]
	v_pk_add_f32 v[112:113], v[112:113], v[124:125] op_sel_hi:[0,1]
	v_mul_f32_e32 v104, 0x3f4a47b2, v43
	v_mov_b32_e32 v112, v126
	v_add_f32_e32 v105, v113, v6
	v_sub_f32_e32 v0, v124, v45
	v_pk_mul_f32 v[124:125], v[126:127], s[14:15]
	v_pk_fma_f32 v[126:127], v[112:113], s[14:15], v[104:105]
	v_pk_fma_f32 v[112:113], v[112:113], s[14:15], v[104:105] neg_lo:[1,0,0] neg_hi:[1,0,0]
	v_fma_f32 v2, v0, s12, -v124
	v_mov_b32_e32 v127, v113
	v_fma_f32 v125, v0, s3, -v104
	v_mov_b32_e32 v124, v113
	v_add_f32_e32 v80, v93, v81
	v_mad_i32_i24 v168, v163, 28, 0
	v_add_f32_e32 v0, v2, v113
	v_pk_add_f32 v[112:113], v[126:127], v[124:125]
	v_pk_add_f32 v[108:109], v[110:111], v[108:109] op_sel_hi:[1,0]
	v_add_f32_e32 v81, v99, v80
	v_pk_add_f32 v[110:111], v[112:113], v[108:109]
	ds_write_b32 v168, v105
	ds_write2_b32 v168, v110, v111 offset0:1 offset1:2
	v_pk_add_f32 v[104:105], v[0:1], v[94:95] neg_lo:[0,1] neg_hi:[0,1]
	v_pk_add_f32 v[94:95], v[0:1], v[94:95]
	v_sub_f32_e32 v0, v80, v99
	v_pk_add_f32 v[180:181], v[118:119], v[80:81] neg_lo:[0,1] neg_hi:[0,1]
	v_pk_add_f32 v[80:81], v[118:119], v[80:81] op_sel_hi:[0,1]
	v_mov_b32_e32 v80, v180
	v_add_f32_e32 v117, v81, v77
	v_pk_mul_f32 v[76:77], v[180:181], s[14:15]
	v_pk_fma_f32 v[180:181], v[80:81], s[14:15], v[116:117]
	v_pk_fma_f32 v[80:81], v[80:81], s[14:15], v[116:117] neg_lo:[1,0,0] neg_hi:[1,0,0]
	s_movk_i32 s11, 0xffe8
	v_mov_b32_e32 v181, v81
	v_fma_f32 v2, v0, s12, -v76
	v_fma_f32 v77, v0, s3, -v116
	v_mov_b32_e32 v76, v81
	v_mul_f32_e32 v42, 0x3f08b237, v73
	v_mad_i32_i24 v172, v159, s11, v35
	v_add_f32_e32 v0, v2, v81
	v_pk_add_f32 v[76:77], v[180:181], v[76:77]
	v_pk_add_f32 v[80:81], v[122:123], v[120:121] op_sel_hi:[1,0]
	v_add_f32_e32 v32, v57, v33
	v_mul_f32_e32 v43, 0xbf5ff5aa, v36
	v_fma_f32 v36, v36, s2, -v42
	ds_write2_b32 v168, v104, v94 offset0:3 offset1:4
	v_pk_add_f32 v[94:95], v[112:113], v[108:109] neg_lo:[0,1] neg_hi:[0,1]
	v_add_u32_e32 v161, 0x400, v172
	v_add_u32_e32 v167, 0x800, v172
	;; [unrolled: 1-line block ×6, first 2 shown]
	v_mad_i32_i24 v178, v165, s11, v169
	v_add_u32_e32 v171, 0xa00, v172
	v_add_u32_e32 v157, 0x2000, v172
	v_mad_i32_i24 v177, v107, s11, v164
	v_add_u32_e32 v166, 0x1c00, v172
	v_mad_i32_i24 v176, v115, s11, v92
	v_add_u32_e32 v158, 0xc00, v172
	v_add_u32_e32 v160, 0x1600, v172
	v_mad_i32_i24 v175, v119, s11, v97
	v_mad_i32_i24 v174, v101, s11, v156
	v_add_u32_e32 v83, 0x2200, v172
	v_mad_i32_i24 v87, v163, s11, v168
	v_pk_add_f32 v[122:123], v[76:77], v[80:81] neg_lo:[0,1] neg_hi:[0,1]
	v_pk_add_f32 v[76:77], v[80:81], v[76:77]
	v_add_f32_e32 v33, v79, v32
	v_mul_f32_e32 v38, 0xbee1c552, v59
	v_fmac_f32_e32 v36, 0xbee1c552, v59
	ds_write2_b32 v168, v95, v94 offset0:5 offset1:6
	s_waitcnt lgkmcnt(0)
	; wave barrier
	s_waitcnt lgkmcnt(0)
	ds_read_b32 v67, v172
	ds_read_b32 v59, v178
	ds_read2_b32 v[154:155], v161 offset0:87 offset1:136
	ds_read2_b32 v[112:113], v167 offset0:125 offset1:174
	;; [unrolled: 1-line block ×9, first 2 shown]
	ds_read_b32 v56, v177
	ds_read2_b32 v[142:143], v161 offset0:185 offset1:234
	ds_read2_b32 v[140:141], v162 offset0:103 offset1:152
	ds_read2_b32 v[138:139], v166 offset0:21 offset1:70
	ds_read_b32 v55, v176
	ds_read2_b32 v[136:137], v158 offset0:65 offset1:114
	ds_read2_b32 v[134:135], v160 offset0:111 offset1:160
	ds_read2_b32 v[132:133], v157 offset0:157 offset1:206
	;; [unrolled: 4-line block ×4, first 2 shown]
	ds_read_b32 v45, v87
	s_waitcnt lgkmcnt(0)
	; wave barrier
	s_waitcnt lgkmcnt(0)
	ds_write_b32 v35, v117
	ds_write2_b32 v35, v122, v123 offset0:1 offset1:2
	v_pk_add_f32 v[116:117], v[0:1], v[114:115]
	v_pk_add_f32 v[122:123], v[0:1], v[114:115] neg_lo:[0,1] neg_hi:[0,1]
	v_mov_b32_e32 v37, v76
	ds_write2_b32 v35, v77, v76 offset0:5 offset1:6
	v_sub_f32_e32 v0, v32, v79
	v_pk_add_f32 v[76:77], v[106:107], v[32:33] neg_lo:[0,1] neg_hi:[0,1]
	v_pk_add_f32 v[32:33], v[106:107], v[32:33] op_sel_hi:[0,1]
	v_mov_b32_e32 v32, v76
	v_add_f32_e32 v99, v33, v31
	v_pk_mul_f32 v[30:31], v[76:77], s[14:15]
	v_pk_fma_f32 v[76:77], v[32:33], s[14:15], v[98:99]
	v_pk_fma_f32 v[32:33], v[32:33], s[14:15], v[98:99] neg_lo:[1,0,0] neg_hi:[1,0,0]
	v_fma_f32 v2, v0, s12, -v30
	v_mov_b32_e32 v77, v33
	v_fma_f32 v31, v0, s3, -v98
	v_mov_b32_e32 v30, v33
	v_add_f32_e32 v0, v2, v33
	v_pk_add_f32 v[30:31], v[76:77], v[30:31]
	v_pk_add_f32 v[32:33], v[102:103], v[100:101] op_sel_hi:[1,0]
	v_add_f32_e32 v26, v29, v27
	v_pk_add_f32 v[76:77], v[30:31], v[32:33] neg_lo:[0,1] neg_hi:[0,1]
	v_add_f32_e32 v27, v69, v26
	ds_write2_b32 v35, v116, v122 offset0:3 offset1:4
	ds_write_b32 v169, v99
	ds_write2_b32 v169, v76, v77 offset0:1 offset1:2
	v_pk_add_f32 v[76:77], v[0:1], v[96:97]
	v_pk_add_f32 v[80:81], v[0:1], v[96:97] neg_lo:[0,1] neg_hi:[0,1]
	v_sub_f32_e32 v0, v26, v69
	v_pk_add_f32 v[28:29], v[90:91], v[26:27] neg_lo:[0,1] neg_hi:[0,1]
	v_pk_add_f32 v[26:27], v[90:91], v[26:27] op_sel_hi:[0,1]
	v_fmac_f32_e32 v42, 0xbeae86e6, v85
	v_fma_f32 v43, v85, s1, -v43
	v_mov_b32_e32 v26, v28
	v_add_f32_e32 v85, v27, v25
	v_pk_mul_f32 v[24:25], v[28:29], s[14:15]
	v_pk_fma_f32 v[28:29], v[26:27], s[14:15], v[84:85]
	v_pk_fma_f32 v[26:27], v[26:27], s[14:15], v[84:85] neg_lo:[1,0,0] neg_hi:[1,0,0]
	v_fma_f32 v2, v0, s12, -v24
	v_mov_b32_e32 v29, v27
	v_fma_f32 v25, v0, s3, -v84
	v_mov_b32_e32 v24, v27
	v_add_f32_e32 v0, v2, v27
	v_pk_add_f32 v[24:25], v[28:29], v[24:25]
	v_pk_add_f32 v[26:27], v[88:89], v[86:87] op_sel_hi:[1,0]
	v_add_f32_e32 v20, v23, v21
	v_pk_add_f32 v[30:31], v[32:33], v[30:31]
	v_pk_add_f32 v[28:29], v[24:25], v[26:27] neg_lo:[0,1] neg_hi:[0,1]
	v_add_f32_e32 v21, v63, v20
	ds_write2_b32 v169, v76, v80 offset0:3 offset1:4
	ds_write2_b32 v169, v31, v30 offset0:5 offset1:6
	ds_write_b32 v164, v85
	ds_write2_b32 v164, v28, v29 offset0:1 offset1:2
	v_pk_add_f32 v[28:29], v[0:1], v[82:83]
	v_pk_add_f32 v[30:31], v[0:1], v[82:83] neg_lo:[0,1] neg_hi:[0,1]
	v_sub_f32_e32 v0, v20, v63
	v_pk_add_f32 v[22:23], v[78:79], v[20:21] neg_lo:[0,1] neg_hi:[0,1]
	v_pk_add_f32 v[20:21], v[78:79], v[20:21] op_sel_hi:[0,1]
	v_mov_b32_e32 v20, v22
	v_add_f32_e32 v71, v21, v19
	v_pk_mul_f32 v[18:19], v[22:23], s[14:15]
	v_pk_fma_f32 v[22:23], v[20:21], s[14:15], v[70:71]
	v_pk_fma_f32 v[20:21], v[20:21], s[14:15], v[70:71] neg_lo:[1,0,0] neg_hi:[1,0,0]
	v_fma_f32 v2, v0, s12, -v18
	v_mov_b32_e32 v23, v21
	v_fma_f32 v19, v0, s3, -v70
	v_mov_b32_e32 v18, v21
	v_add_f32_e32 v0, v2, v21
	v_pk_add_f32 v[18:19], v[22:23], v[18:19]
	v_pk_add_f32 v[20:21], v[74:75], v[72:73] op_sel_hi:[1,0]
	v_add_f32_e32 v14, v17, v15
	v_pk_add_f32 v[24:25], v[26:27], v[24:25]
	v_pk_add_f32 v[22:23], v[18:19], v[20:21] neg_lo:[0,1] neg_hi:[0,1]
	v_add_f32_e32 v15, v61, v14
	ds_write2_b32 v164, v28, v30 offset0:3 offset1:4
	ds_write2_b32 v164, v25, v24 offset0:5 offset1:6
	ds_write_b32 v92, v71
	ds_write2_b32 v92, v22, v23 offset0:1 offset1:2
	v_pk_add_f32 v[22:23], v[0:1], v[68:69]
	v_pk_add_f32 v[24:25], v[0:1], v[68:69] neg_lo:[0,1] neg_hi:[0,1]
	v_sub_f32_e32 v0, v14, v61
	v_pk_add_f32 v[16:17], v[66:67], v[14:15] neg_lo:[0,1] neg_hi:[0,1]
	v_pk_add_f32 v[14:15], v[66:67], v[14:15] op_sel_hi:[0,1]
	v_mov_b32_e32 v14, v16
	v_add_f32_e32 v61, v15, v13
	v_pk_mul_f32 v[12:13], v[16:17], s[14:15]
	v_pk_fma_f32 v[16:17], v[14:15], s[14:15], v[60:61]
	v_pk_fma_f32 v[14:15], v[14:15], s[14:15], v[60:61] neg_lo:[1,0,0] neg_hi:[1,0,0]
	v_fma_f32 v2, v0, s12, -v12
	v_mov_b32_e32 v17, v15
	v_fma_f32 v13, v0, s3, -v60
	v_mov_b32_e32 v12, v15
	v_add_f32_e32 v4, v11, v5
	v_add_f32_e32 v0, v2, v15
	v_pk_add_f32 v[12:13], v[16:17], v[12:13]
	v_pk_add_f32 v[14:15], v[64:65], v[62:63] op_sel_hi:[1,0]
	v_add_f32_e32 v5, v47, v4
	v_pk_add_f32 v[18:19], v[20:21], v[18:19]
	v_pk_add_f32 v[16:17], v[12:13], v[14:15] neg_lo:[0,1] neg_hi:[0,1]
	v_sub_f32_e32 v2, v4, v47
	v_pk_add_f32 v[10:11], v[54:55], v[4:5] neg_lo:[0,1] neg_hi:[0,1]
	v_pk_add_f32 v[4:5], v[54:55], v[4:5] op_sel_hi:[0,1]
	ds_write2_b32 v92, v22, v24 offset0:3 offset1:4
	ds_write2_b32 v92, v19, v18 offset0:5 offset1:6
	ds_write_b32 v97, v61
	ds_write2_b32 v97, v16, v17 offset0:1 offset1:2
	v_pk_add_f32 v[16:17], v[0:1], v[58:59]
	v_pk_add_f32 v[18:19], v[0:1], v[58:59] neg_lo:[0,1] neg_hi:[0,1]
	v_mov_b32_e32 v4, v10
	v_add_f32_e32 v47, v5, v1
	v_pk_mul_f32 v[0:1], v[10:11], s[14:15]
	v_pk_fma_f32 v[10:11], v[4:5], s[14:15], v[46:47]
	v_pk_fma_f32 v[4:5], v[4:5], s[14:15], v[46:47] neg_lo:[1,0,0] neg_hi:[1,0,0]
	v_fma_f32 v0, v2, s12, -v0
	v_mov_b32_e32 v11, v5
	v_fma_f32 v1, v2, s3, -v46
	v_add_f32_e32 v2, v0, v5
	v_mov_b32_e32 v0, v5
	v_pk_add_f32 v[0:1], v[10:11], v[0:1]
	v_pk_add_f32 v[4:5], v[52:53], v[50:51] op_sel_hi:[1,0]
	v_pk_add_f32 v[12:13], v[14:15], v[12:13]
	v_pk_add_f32 v[10:11], v[0:1], v[4:5] neg_lo:[0,1] neg_hi:[0,1]
	v_pk_add_f32 v[0:1], v[4:5], v[0:1]
	ds_write2_b32 v97, v16, v18 offset0:3 offset1:4
	ds_write2_b32 v97, v13, v12 offset0:5 offset1:6
	ds_write_b32 v156, v47
	ds_write2_b32 v156, v10, v11 offset0:1 offset1:2
	ds_write2_b32 v156, v1, v0 offset0:5 offset1:6
	v_add_f32_e32 v0, v9, v3
	v_add_f32_e32 v1, v39, v0
	v_pk_add_f32 v[10:11], v[2:3], v[48:49]
	v_pk_add_f32 v[12:13], v[2:3], v[48:49] neg_lo:[0,1] neg_hi:[0,1]
	v_sub_f32_e32 v6, v0, v39
	v_pk_add_f32 v[2:3], v[44:45], v[0:1] neg_lo:[0,1] neg_hi:[0,1]
	v_pk_add_f32 v[0:1], v[44:45], v[0:1] op_sel_hi:[0,1]
	v_mov_b32_e32 v0, v2
	v_add_f32_e32 v35, v1, v7
	v_pk_mul_f32 v[2:3], v[2:3], s[14:15]
	v_pk_fma_f32 v[4:5], v[0:1], s[14:15], v[34:35]
	v_pk_fma_f32 v[0:1], v[0:1], s[14:15], v[34:35] neg_lo:[1,0,0] neg_hi:[1,0,0]
	v_fma_f32 v3, v6, s3, -v34
	v_mov_b32_e32 v5, v1
	v_fma_f32 v0, v6, s12, -v2
	v_mov_b32_e32 v2, v1
	v_mov_b32_e32 v84, 37
	v_pk_add_f32 v[2:3], v[4:5], v[2:3]
	v_pk_add_f32 v[4:5], v[42:43], v[38:39] op_sel_hi:[1,0]
	v_mul_lo_u16_sdwa v42, v159, v84 dst_sel:DWORD dst_unused:UNUSED_PAD src0_sel:BYTE_0 src1_sel:DWORD
	v_sub_u16_sdwa v43, v159, v42 dst_sel:DWORD dst_unused:UNUSED_PAD src0_sel:DWORD src1_sel:BYTE_1
	v_lshrrev_b16_e32 v43, 1, v43
	v_and_b32_e32 v43, 0x7f, v43
	v_add_u16_sdwa v42, v43, v42 dst_sel:DWORD dst_unused:UNUSED_PAD src0_sel:DWORD src1_sel:BYTE_1
	v_lshrrev_b16_e32 v42, 2, v42
	v_mul_lo_u16_e32 v43, 7, v42
	v_add_f32_e32 v0, v0, v1
	v_pk_add_f32 v[6:7], v[2:3], v[4:5] neg_lo:[0,1] neg_hi:[0,1]
	v_sub_u16_e32 v43, v159, v43
	v_mov_b32_e32 v90, 6
	ds_write2_b32 v156, v10, v12 offset0:3 offset1:4
	ds_write_b32 v168, v35
	ds_write2_b32 v168, v6, v7 offset0:1 offset1:2
	v_pk_add_f32 v[6:7], v[0:1], v[36:37]
	v_pk_add_f32 v[0:1], v[0:1], v[36:37] neg_lo:[0,1] neg_hi:[0,1]
	v_mul_u32_u24_sdwa v54, v43, v90 dst_sel:DWORD dst_unused:UNUSED_PAD src0_sel:BYTE_0 src1_sel:DWORD
	ds_write2_b32 v168, v6, v0 offset0:3 offset1:4
	v_pk_add_f32 v[0:1], v[4:5], v[2:3]
	v_lshlrev_b32_e32 v54, 3, v54
	ds_write2_b32 v168, v1, v0 offset0:5 offset1:6
	s_waitcnt lgkmcnt(0)
	; wave barrier
	s_waitcnt lgkmcnt(0)
	ds_read_b32 v48, v172
	ds_read2_b32 v[68:69], v161 offset0:87 offset1:136
	ds_read2_b32 v[12:13], v167 offset0:125 offset1:174
	ds_read2_b32 v[38:39], v162 offset0:5 offset1:54
	ds_read2_b32 v[8:9], v170 offset0:43 offset1:92
	ds_read2_b32 v[36:37], v173 offset0:179 offset1:228
	ds_read2_b32 v[4:5], v91 offset0:89 offset1:138
	ds_read_b32 v52, v178
	ds_read2_b32 v[34:35], v171 offset0:95 offset1:144
	ds_read2_b32 v[32:33], v170 offset0:141 offset1:190
	ds_read2_b32 v[30:31], v157 offset0:59 offset1:108
	ds_read_b32 v53, v177
	ds_read2_b32 v[28:29], v161 offset0:185 offset1:234
	ds_read2_b32 v[26:27], v162 offset0:103 offset1:152
	ds_read2_b32 v[24:25], v166 offset0:21 offset1:70
	;; [unrolled: 4-line block ×5, first 2 shown]
	ds_read_b32 v44, v87
	global_load_dwordx4 v[74:77], v54, s[4:5] offset:32
	global_load_dwordx4 v[78:81], v54, s[4:5] offset:16
	global_load_dwordx4 v[60:63], v54, s[4:5]
	s_movk_i32 s11, 0x2493
	v_mul_u32_u24_e32 v42, 0xc4, v42
	s_mov_b32 s6, 0xbeae86e6
	s_mov_b32 s10, 0x3f4a47b2
	;; [unrolled: 1-line block ×4, first 2 shown]
	s_waitcnt vmcnt(2) lgkmcnt(14)
	v_mul_f32_e32 v72, v36, v75
	v_fmac_f32_e32 v72, v150, v74
	s_waitcnt vmcnt(0)
	v_mul_f32_e32 v54, v154, v61
	v_fma_f32 v71, v68, v60, -v54
	v_mul_f32_e32 v54, v113, v63
	v_mul_f32_e32 v64, v13, v63
	v_fma_f32 v66, v13, v62, -v54
	v_mul_f32_e32 v13, v152, v79
	v_fmac_f32_e32 v64, v113, v62
	v_fma_f32 v62, v38, v78, -v13
	v_mul_f32_e32 v13, v109, v81
	v_mul_f32_e32 v63, v9, v81
	v_fma_f32 v65, v9, v80, -v13
	v_mul_f32_e32 v9, v150, v75
	v_fma_f32 v73, v36, v74, -v9
	v_mul_f32_e32 v9, v95, v77
	v_mul_f32_e32 v74, v5, v77
	v_fma_f32 v75, v5, v76, -v9
	v_mul_lo_u16_sdwa v5, v165, v84 dst_sel:DWORD dst_unused:UNUSED_PAD src0_sel:BYTE_0 src1_sel:DWORD
	v_sub_u16_sdwa v9, v165, v5 dst_sel:DWORD dst_unused:UNUSED_PAD src0_sel:DWORD src1_sel:BYTE_1
	v_lshrrev_b16_e32 v9, 1, v9
	v_and_b32_e32 v9, 0x7f, v9
	v_add_u16_sdwa v5, v9, v5 dst_sel:DWORD dst_unused:UNUSED_PAD src0_sel:DWORD src1_sel:BYTE_1
	v_lshrrev_b16_e32 v5, 2, v5
	v_mul_lo_u16_e32 v9, 7, v5
	v_sub_u16_e32 v9, v165, v9
	v_mul_f32_e32 v70, v68, v61
	v_mul_u32_u24_sdwa v13, v9, v90 dst_sel:DWORD dst_unused:UNUSED_PAD src0_sel:BYTE_0 src1_sel:DWORD
	v_fmac_f32_e32 v70, v154, v60
	v_mul_f32_e32 v60, v38, v79
	v_lshlrev_b32_e32 v13, 3, v13
	v_fmac_f32_e32 v60, v152, v78
	v_fmac_f32_e32 v74, v95, v76
	global_load_dwordx4 v[76:79], v13, s[4:5] offset:32
	global_load_dwordx4 v[180:183], v13, s[4:5] offset:16
	global_load_dwordx4 v[184:187], v13, s[4:5]
	v_fmac_f32_e32 v63, v109, v80
	v_mul_u32_u24_e32 v5, 0xc4, v5
	s_waitcnt vmcnt(2)
	v_mul_f32_e32 v61, v37, v77
	s_waitcnt vmcnt(1)
	v_mul_f32_e32 v58, v32, v183
	;; [unrolled: 2-line block ×3, first 2 shown]
	v_fma_f32 v54, v69, v184, -v13
	v_mul_f32_e32 v13, v148, v187
	v_fma_f32 v57, v34, v186, -v13
	v_mul_f32_e32 v13, v153, v181
	v_mul_f32_e32 v38, v34, v187
	;; [unrolled: 1-line block ×3, first 2 shown]
	v_fma_f32 v39, v39, v180, -v13
	v_mul_f32_e32 v13, v146, v183
	v_fma_f32 v32, v32, v182, -v13
	v_mul_f32_e32 v13, v151, v77
	;; [unrolled: 2-line block ×3, first 2 shown]
	v_mul_f32_e32 v36, v69, v185
	v_fma_f32 v69, v30, v78, -v13
	v_mul_lo_u16_sdwa v13, v107, v84 dst_sel:DWORD dst_unused:UNUSED_PAD src0_sel:BYTE_0 src1_sel:DWORD
	v_mul_f32_e32 v68, v30, v79
	v_sub_u16_sdwa v30, v107, v13 dst_sel:DWORD dst_unused:UNUSED_PAD src0_sel:DWORD src1_sel:BYTE_1
	v_lshrrev_b16_e32 v30, 1, v30
	v_and_b32_e32 v30, 0x7f, v30
	v_add_u16_sdwa v13, v30, v13 dst_sel:DWORD dst_unused:UNUSED_PAD src0_sel:DWORD src1_sel:BYTE_1
	v_lshrrev_b16_e32 v13, 2, v13
	v_mul_lo_u16_e32 v30, 7, v13
	v_sub_u16_e32 v30, v107, v30
	v_fmac_f32_e32 v61, v151, v76
	v_mul_u32_u24_sdwa v76, v30, v90 dst_sel:DWORD dst_unused:UNUSED_PAD src0_sel:BYTE_0 src1_sel:DWORD
	v_lshlrev_b32_e32 v76, 3, v76
	v_fmac_f32_e32 v34, v153, v180
	v_fmac_f32_e32 v58, v146, v182
	;; [unrolled: 1-line block ×3, first 2 shown]
	global_load_dwordx4 v[150:153], v76, s[4:5] offset:32
	global_load_dwordx4 v[180:183], v76, s[4:5] offset:16
	global_load_dwordx4 v[78:81], v76, s[4:5]
	v_fmac_f32_e32 v36, v155, v184
	v_fmac_f32_e32 v38, v148, v186
	s_waitcnt vmcnt(2) lgkmcnt(13)
	v_mul_f32_e32 v82, v24, v151
	v_mul_f32_e32 v86, v31, v153
	s_waitcnt vmcnt(0)
	v_mul_f32_e32 v76, v28, v79
	v_mul_f32_e32 v77, v142, v79
	v_fmac_f32_e32 v76, v142, v78
	v_fma_f32 v78, v28, v78, -v77
	v_mul_f32_e32 v77, v149, v81
	v_mul_f32_e32 v28, v35, v81
	v_fma_f32 v79, v35, v80, -v77
	v_mul_f32_e32 v35, v140, v181
	v_fmac_f32_e32 v28, v149, v80
	v_mul_f32_e32 v77, v26, v181
	v_fma_f32 v80, v26, v180, -v35
	v_mul_f32_e32 v26, v147, v183
	v_mul_f32_e32 v81, v33, v183
	v_fma_f32 v33, v33, v182, -v26
	v_mul_f32_e32 v26, v138, v151
	v_fma_f32 v85, v24, v150, -v26
	;; [unrolled: 2-line block ×3, first 2 shown]
	v_mul_lo_u16_sdwa v24, v115, v84 dst_sel:DWORD dst_unused:UNUSED_PAD src0_sel:BYTE_0 src1_sel:DWORD
	v_sub_u16_sdwa v26, v115, v24 dst_sel:DWORD dst_unused:UNUSED_PAD src0_sel:DWORD src1_sel:BYTE_1
	v_lshrrev_b16_e32 v26, 1, v26
	v_and_b32_e32 v26, 0x7f, v26
	v_add_u16_sdwa v24, v26, v24 dst_sel:DWORD dst_unused:UNUSED_PAD src0_sel:DWORD src1_sel:BYTE_1
	v_lshrrev_b16_e32 v24, 2, v24
	v_mul_lo_u16_e32 v26, 7, v24
	v_sub_u16_e32 v26, v115, v26
	v_mul_u32_u24_sdwa v35, v26, v90 dst_sel:DWORD dst_unused:UNUSED_PAD src0_sel:BYTE_0 src1_sel:DWORD
	v_lshlrev_b32_e32 v35, 3, v35
	v_fmac_f32_e32 v81, v147, v182
	v_fmac_f32_e32 v82, v138, v150
	;; [unrolled: 1-line block ×3, first 2 shown]
	global_load_dwordx4 v[144:147], v35, s[4:5] offset:32
	global_load_dwordx4 v[148:151], v35, s[4:5] offset:16
	global_load_dwordx4 v[152:155], v35, s[4:5]
	v_fmac_f32_e32 v77, v140, v180
	s_waitcnt vmcnt(2)
	v_mul_f32_e32 v138, v25, v145
	s_waitcnt vmcnt(1)
	v_mul_f32_e32 v89, v27, v149
	s_waitcnt vmcnt(0)
	v_mul_f32_e32 v35, v143, v153
	v_fma_f32 v109, v29, v152, -v35
	v_mul_f32_e32 v35, v136, v155
	v_mul_f32_e32 v88, v29, v153
	s_waitcnt lgkmcnt(11)
	v_mul_f32_e32 v29, v22, v155
	v_fma_f32 v116, v22, v154, -v35
	v_mul_f32_e32 v22, v141, v149
	v_fmac_f32_e32 v29, v136, v154
	v_fma_f32 v27, v27, v148, -v22
	s_waitcnt lgkmcnt(10)
	v_mul_f32_e32 v136, v20, v151
	v_mul_f32_e32 v22, v134, v151
	v_fmac_f32_e32 v136, v134, v150
	v_fma_f32 v134, v20, v150, -v22
	v_mul_f32_e32 v20, v139, v145
	v_fmac_f32_e32 v138, v139, v144
	v_fma_f32 v25, v25, v144, -v20
	s_waitcnt lgkmcnt(9)
	v_mul_f32_e32 v139, v18, v147
	v_mul_f32_e32 v20, v132, v147
	v_fmac_f32_e32 v139, v132, v146
	v_fma_f32 v132, v18, v146, -v20
	v_mul_lo_u16_sdwa v18, v119, v84 dst_sel:DWORD dst_unused:UNUSED_PAD src0_sel:BYTE_0 src1_sel:DWORD
	v_sub_u16_sdwa v20, v119, v18 dst_sel:DWORD dst_unused:UNUSED_PAD src0_sel:DWORD src1_sel:BYTE_1
	v_lshrrev_b16_e32 v20, 1, v20
	v_and_b32_e32 v20, 0x7f, v20
	v_add_u16_sdwa v18, v20, v18 dst_sel:DWORD dst_unused:UNUSED_PAD src0_sel:DWORD src1_sel:BYTE_1
	v_lshrrev_b16_e32 v20, 2, v18
	v_mul_lo_u16_e32 v18, 7, v20
	v_sub_u16_e32 v18, v119, v18
	v_mul_u32_u24_sdwa v22, v18, v90 dst_sel:DWORD dst_unused:UNUSED_PAD src0_sel:BYTE_0 src1_sel:DWORD
	v_lshlrev_b32_e32 v22, 3, v22
	v_fmac_f32_e32 v88, v143, v152
	v_fmac_f32_e32 v89, v141, v148
	global_load_dwordx4 v[144:147], v22, s[4:5] offset:32
	global_load_dwordx4 v[148:151], v22, s[4:5] offset:16
	global_load_dwordx4 v[152:155], v22, s[4:5]
	v_add_f32_e32 v35, v62, v65
	v_sub_f32_e32 v62, v65, v62
	s_waitcnt vmcnt(1)
	v_mul_f32_e32 v143, v21, v151
	s_waitcnt vmcnt(0) lgkmcnt(7)
	v_mul_f32_e32 v140, v16, v153
	v_mul_f32_e32 v22, v130, v153
	v_fmac_f32_e32 v140, v130, v152
	v_fma_f32 v141, v16, v152, -v22
	v_mul_f32_e32 v130, v23, v155
	v_mul_f32_e32 v16, v137, v155
	v_fmac_f32_e32 v130, v137, v154
	v_fma_f32 v142, v23, v154, -v16
	s_waitcnt lgkmcnt(6)
	v_mul_f32_e32 v137, v2, v149
	v_mul_f32_e32 v16, v128, v149
	v_fmac_f32_e32 v137, v128, v148
	v_fma_f32 v128, v2, v148, -v16
	v_mul_f32_e32 v2, v135, v151
	v_fmac_f32_e32 v143, v135, v150
	v_fma_f32 v21, v21, v150, -v2
	s_waitcnt lgkmcnt(5)
	v_mul_f32_e32 v135, v0, v145
	v_mul_f32_e32 v2, v126, v145
	v_fmac_f32_e32 v135, v126, v144
	v_fma_f32 v126, v0, v144, -v2
	v_mul_f32_e32 v144, v19, v147
	v_mul_f32_e32 v0, v133, v147
	v_fmac_f32_e32 v144, v133, v146
	v_fma_f32 v133, v19, v146, -v0
	v_mul_u32_u24_sdwa v0, v101, s11 dst_sel:DWORD dst_unused:UNUSED_PAD src0_sel:WORD_0 src1_sel:DWORD
	v_sub_u16_sdwa v2, v101, v0 dst_sel:DWORD dst_unused:UNUSED_PAD src0_sel:DWORD src1_sel:WORD_1
	v_lshrrev_b16_e32 v2, 1, v2
	v_add_u16_sdwa v0, v2, v0 dst_sel:DWORD dst_unused:UNUSED_PAD src0_sel:DWORD src1_sel:WORD_1
	v_lshrrev_b16_e32 v16, 2, v0
	v_mul_lo_u16_e32 v0, 7, v16
	v_sub_u16_e32 v19, v101, v0
	v_mul_u32_u24_e32 v0, 6, v19
	v_lshlrev_b32_e32 v0, 3, v0
	global_load_dwordx4 v[152:155], v0, s[4:5] offset:32
	global_load_dwordx4 v[148:151], v0, s[4:5] offset:16
	global_load_dwordx4 v[180:183], v0, s[4:5]
	v_sub_f32_e32 v22, v66, v73
	v_add_f32_e32 v23, v60, v63
	v_sub_f32_e32 v60, v63, v60
	s_waitcnt vmcnt(0)
	v_mul_f32_e32 v0, v131, v181
	v_mul_f32_e32 v145, v17, v181
	v_fma_f32 v146, v17, v180, -v0
	v_mul_f32_e32 v0, v124, v183
	v_fmac_f32_e32 v145, v131, v180
	s_waitcnt lgkmcnt(3)
	v_fma_f32 v147, v14, v182, -v0
	v_mul_f32_e32 v131, v3, v149
	v_mul_f32_e32 v0, v129, v149
	v_fmac_f32_e32 v131, v129, v148
	v_fma_f32 v129, v3, v148, -v0
	s_waitcnt lgkmcnt(2)
	v_mul_f32_e32 v148, v10, v151
	v_mul_f32_e32 v0, v110, v151
	v_fmac_f32_e32 v148, v110, v150
	v_fma_f32 v149, v10, v150, -v0
	v_mul_f32_e32 v150, v1, v153
	v_mul_f32_e32 v0, v127, v153
	v_fmac_f32_e32 v150, v127, v152
	v_fma_f32 v127, v1, v152, -v0
	v_mul_f32_e32 v0, v104, v155
	s_waitcnt lgkmcnt(1)
	v_fma_f32 v152, v6, v154, -v0
	v_mul_u32_u24_sdwa v0, v163, s11 dst_sel:DWORD dst_unused:UNUSED_PAD src0_sel:WORD_0 src1_sel:DWORD
	v_sub_u16_sdwa v1, v163, v0 dst_sel:DWORD dst_unused:UNUSED_PAD src0_sel:DWORD src1_sel:WORD_1
	v_lshrrev_b16_e32 v1, 1, v1
	v_add_u16_sdwa v0, v1, v0 dst_sel:DWORD dst_unused:UNUSED_PAD src0_sel:DWORD src1_sel:WORD_1
	v_mul_f32_e32 v151, v6, v155
	v_lshrrev_b16_e32 v6, 2, v0
	v_mul_lo_u16_e32 v0, 7, v6
	v_sub_u16_e32 v10, v163, v0
	v_mul_u32_u24_e32 v0, 6, v10
	v_mul_f32_e32 v17, v14, v183
	v_lshlrev_b32_e32 v14, 3, v0
	v_fmac_f32_e32 v17, v124, v182
	global_load_dwordx4 v[0:3], v14, s[4:5] offset:32
	global_load_dwordx4 v[180:183], v14, s[4:5] offset:16
	global_load_dwordx4 v[184:187], v14, s[4:5]
	v_fmac_f32_e32 v151, v104, v154
	s_waitcnt lgkmcnt(0)
	; wave barrier
	s_waitcnt lgkmcnt(0)
	s_movk_i32 s11, 0x4f
	s_waitcnt vmcnt(1)
	v_mul_f32_e32 v179, v8, v181
	s_waitcnt vmcnt(0)
	v_mul_f32_e32 v14, v112, v185
	v_mul_f32_e32 v153, v12, v185
	v_fma_f32 v154, v12, v184, -v14
	v_mul_f32_e32 v12, v125, v187
	v_mul_f32_e32 v155, v15, v187
	v_fma_f32 v15, v15, v186, -v12
	v_mul_f32_e32 v12, v108, v181
	v_fmac_f32_e32 v179, v108, v180
	v_fma_f32 v180, v8, v180, -v12
	v_mul_f32_e32 v181, v11, v183
	v_mul_f32_e32 v8, v111, v183
	v_fmac_f32_e32 v181, v111, v182
	v_fma_f32 v11, v11, v182, -v8
	v_mul_f32_e32 v182, v4, v1
	;; [unrolled: 4-line block ×3, first 2 shown]
	v_mul_f32_e32 v1, v105, v3
	v_fmac_f32_e32 v183, v105, v2
	v_fma_f32 v3, v7, v2, -v1
	v_add_f32_e32 v1, v70, v74
	v_add_f32_e32 v2, v71, v75
	v_add_f32_e32 v8, v64, v72
	v_add_f32_e32 v12, v66, v73
	v_sub_f32_e32 v4, v70, v74
	v_sub_f32_e32 v14, v64, v72
	v_add_f32_e32 v63, v8, v1
	v_add_f32_e32 v64, v12, v2
	v_sub_f32_e32 v7, v71, v75
	v_sub_f32_e32 v65, v8, v1
	v_sub_f32_e32 v66, v12, v2
	v_sub_f32_e32 v1, v1, v23
	v_sub_f32_e32 v2, v2, v35
	v_sub_f32_e32 v8, v23, v8
	v_sub_f32_e32 v12, v35, v12
	v_add_f32_e32 v70, v60, v14
	v_sub_f32_e32 v72, v60, v14
	v_sub_f32_e32 v73, v62, v22
	;; [unrolled: 1-line block ×3, first 2 shown]
	v_add_f32_e32 v23, v23, v63
	v_add_f32_e32 v35, v35, v64
	v_add_f32_e32 v71, v62, v22
	v_sub_f32_e32 v60, v4, v60
	v_sub_f32_e32 v62, v7, v62
	;; [unrolled: 1-line block ×3, first 2 shown]
	v_add_f32_e32 v4, v70, v4
	v_add_f32_e32 v84, v67, v23
	;; [unrolled: 1-line block ×3, first 2 shown]
	v_mul_f32_e32 v1, 0x3f4a47b2, v1
	v_mul_f32_e32 v2, 0x3f4a47b2, v2
	;; [unrolled: 1-line block ×7, first 2 shown]
	v_add_f32_e32 v7, v71, v7
	v_mul_f32_e32 v71, 0xbf5ff5aa, v22
	v_fmamk_f32 v23, v23, 0xbf955555, v84
	v_fmamk_f32 v35, v35, 0xbf955555, v93
	v_fma_f32 v48, v65, s12, -v48
	v_fma_f32 v63, v66, s12, -v63
	v_fma_f32 v65, v65, s3, -v1
	v_fmac_f32_e32 v1, 0x3d64c772, v8
	v_fma_f32 v8, v66, s3, -v2
	v_fmac_f32_e32 v2, 0x3d64c772, v12
	v_fma_f32 v12, v14, s2, -v64
	;; [unrolled: 2-line block ×4, first 2 shown]
	v_fma_f32 v60, v62, s1, -v71
	v_add_f32_e32 v1, v1, v23
	v_add_f32_e32 v2, v2, v35
	;; [unrolled: 1-line block ×5, first 2 shown]
	v_fmac_f32_e32 v64, 0xbee1c552, v4
	v_fmac_f32_e32 v67, 0xbee1c552, v7
	;; [unrolled: 1-line block ×6, first 2 shown]
	v_add_f32_e32 v23, v65, v23
	v_fmac_f32_e32 v60, 0xbee1c552, v7
	v_add_f32_e32 v125, v67, v1
	v_sub_f32_e32 v108, v2, v64
	v_sub_f32_e32 v102, v8, v22
	;; [unrolled: 1-line block ×3, first 2 shown]
	v_add_f32_e32 v105, v12, v62
	v_add_f32_e32 v117, v14, v48
	v_sub_f32_e32 v100, v62, v12
	v_add_f32_e32 v104, v22, v8
	v_sub_f32_e32 v48, v1, v67
	v_add_f32_e32 v103, v64, v2
	v_add_f32_e32 v1, v36, v68
	;; [unrolled: 1-line block ×6, first 2 shown]
	v_sub_f32_e32 v120, v23, v60
	v_sub_f32_e32 v4, v36, v68
	;; [unrolled: 1-line block ×4, first 2 shown]
	v_add_f32_e32 v23, v34, v58
	v_add_f32_e32 v35, v39, v32
	v_sub_f32_e32 v34, v58, v34
	v_sub_f32_e32 v32, v32, v39
	v_add_f32_e32 v36, v8, v1
	v_add_f32_e32 v37, v12, v2
	v_sub_f32_e32 v7, v54, v69
	v_sub_f32_e32 v38, v8, v1
	;; [unrolled: 1-line block ×7, first 2 shown]
	v_add_f32_e32 v54, v34, v14
	v_add_f32_e32 v57, v32, v22
	v_sub_f32_e32 v58, v34, v14
	v_sub_f32_e32 v60, v32, v22
	;; [unrolled: 1-line block ×3, first 2 shown]
	v_add_f32_e32 v23, v23, v36
	v_add_f32_e32 v35, v35, v37
	v_sub_f32_e32 v34, v4, v34
	v_sub_f32_e32 v32, v7, v32
	;; [unrolled: 1-line block ×3, first 2 shown]
	v_add_f32_e32 v4, v54, v4
	v_add_f32_e32 v7, v57, v7
	;; [unrolled: 1-line block ×4, first 2 shown]
	v_mul_f32_e32 v1, 0x3f4a47b2, v1
	v_mul_f32_e32 v2, 0x3f4a47b2, v2
	;; [unrolled: 1-line block ×8, first 2 shown]
	v_fmamk_f32 v23, v23, 0xbf955555, v54
	v_fmamk_f32 v35, v35, 0xbf955555, v90
	v_fma_f32 v36, v38, s12, -v36
	v_fma_f32 v37, v39, s12, -v37
	;; [unrolled: 1-line block ×3, first 2 shown]
	v_fmac_f32_e32 v1, 0x3d64c772, v8
	v_fma_f32 v8, v39, s3, -v2
	v_fmac_f32_e32 v2, 0x3d64c772, v12
	v_fma_f32 v12, v14, s2, -v52
	;; [unrolled: 2-line block ×4, first 2 shown]
	v_fma_f32 v32, v32, s1, -v59
	v_add_f32_e32 v1, v1, v23
	v_add_f32_e32 v2, v2, v35
	;; [unrolled: 1-line block ×5, first 2 shown]
	v_fmac_f32_e32 v52, 0xbee1c552, v4
	v_fmac_f32_e32 v57, 0xbee1c552, v7
	v_fmac_f32_e32 v12, 0xbee1c552, v4
	v_fmac_f32_e32 v22, 0xbee1c552, v4
	v_add_f32_e32 v23, v38, v23
	v_fmac_f32_e32 v14, 0xbee1c552, v7
	v_fmac_f32_e32 v32, 0xbee1c552, v7
	v_add_f32_e32 v124, v57, v1
	v_sub_f32_e32 v106, v2, v52
	v_sub_f32_e32 v96, v8, v22
	v_add_f32_e32 v99, v12, v36
	v_sub_f32_e32 v95, v36, v12
	v_add_f32_e32 v98, v22, v8
	;; [unrolled: 2-line block ×3, first 2 shown]
	v_add_f32_e32 v1, v76, v86
	v_add_f32_e32 v2, v78, v31
	v_add_f32_e32 v8, v28, v82
	v_add_f32_e32 v12, v79, v85
	v_fmac_f32_e32 v153, v112, v184
	v_add_f32_e32 v112, v32, v23
	v_sub_f32_e32 v114, v34, v14
	v_add_f32_e32 v111, v14, v34
	v_sub_f32_e32 v113, v23, v32
	v_sub_f32_e32 v4, v76, v86
	;; [unrolled: 1-line block ×5, first 2 shown]
	v_add_f32_e32 v23, v77, v81
	v_add_f32_e32 v28, v80, v33
	v_sub_f32_e32 v31, v81, v77
	v_sub_f32_e32 v32, v33, v80
	v_add_f32_e32 v33, v8, v1
	v_add_f32_e32 v34, v12, v2
	v_sub_f32_e32 v36, v8, v1
	v_sub_f32_e32 v37, v12, v2
	;; [unrolled: 1-line block ×6, first 2 shown]
	v_add_f32_e32 v38, v31, v14
	v_add_f32_e32 v39, v32, v22
	v_sub_f32_e32 v57, v31, v14
	v_sub_f32_e32 v58, v32, v22
	;; [unrolled: 1-line block ×4, first 2 shown]
	v_add_f32_e32 v23, v23, v33
	v_add_f32_e32 v28, v28, v34
	v_sub_f32_e32 v31, v4, v31
	v_sub_f32_e32 v32, v7, v32
	v_add_f32_e32 v4, v38, v4
	v_add_f32_e32 v7, v39, v7
	;; [unrolled: 1-line block ×4, first 2 shown]
	v_mul_f32_e32 v1, 0x3f4a47b2, v1
	v_mul_f32_e32 v2, 0x3f4a47b2, v2
	;; [unrolled: 1-line block ×8, first 2 shown]
	v_fmamk_f32 v23, v23, 0xbf955555, v52
	v_fmamk_f32 v28, v28, 0xbf955555, v60
	v_fma_f32 v33, v36, s12, -v33
	v_fma_f32 v36, v36, s3, -v1
	v_fmac_f32_e32 v1, 0x3d64c772, v8
	v_fma_f32 v8, v37, s3, -v2
	v_fmac_f32_e32 v2, 0x3d64c772, v12
	;; [unrolled: 2-line block ×4, first 2 shown]
	v_fma_f32 v22, v31, s1, -v53
	v_fma_f32 v31, v32, s1, -v56
	;; [unrolled: 1-line block ×3, first 2 shown]
	v_add_f32_e32 v1, v1, v23
	v_add_f32_e32 v2, v2, v28
	v_add_f32_e32 v32, v33, v23
	v_add_f32_e32 v23, v36, v23
	v_add_f32_e32 v8, v8, v28
	v_fmac_f32_e32 v38, 0xbee1c552, v4
	v_fmac_f32_e32 v39, 0xbee1c552, v7
	;; [unrolled: 1-line block ×5, first 2 shown]
	v_add_f32_e32 v33, v34, v28
	v_fmac_f32_e32 v12, 0xbee1c552, v4
	v_add_f32_e32 v123, v39, v1
	v_sub_f32_e32 v69, v2, v38
	v_add_f32_e32 v86, v31, v23
	v_sub_f32_e32 v67, v8, v22
	v_sub_f32_e32 v110, v32, v14
	v_add_f32_e32 v85, v14, v32
	v_sub_f32_e32 v94, v23, v31
	v_add_f32_e32 v22, v22, v8
	;; [unrolled: 2-line block ×3, first 2 shown]
	v_add_f32_e32 v1, v88, v139
	v_add_f32_e32 v2, v109, v132
	;; [unrolled: 1-line block ×5, first 2 shown]
	v_sub_f32_e32 v12, v33, v12
	v_sub_f32_e32 v4, v88, v139
	;; [unrolled: 1-line block ×4, first 2 shown]
	v_add_f32_e32 v31, v89, v136
	v_add_f32_e32 v32, v27, v134
	v_sub_f32_e32 v33, v136, v89
	v_sub_f32_e32 v27, v134, v27
	v_add_f32_e32 v34, v8, v1
	v_add_f32_e32 v36, v28, v2
	v_sub_f32_e32 v7, v109, v132
	v_sub_f32_e32 v38, v8, v1
	;; [unrolled: 1-line block ×7, first 2 shown]
	v_add_f32_e32 v37, v33, v29
	v_add_f32_e32 v53, v27, v25
	v_sub_f32_e32 v56, v33, v29
	v_sub_f32_e32 v57, v27, v25
	;; [unrolled: 1-line block ×3, first 2 shown]
	v_add_f32_e32 v31, v31, v34
	v_add_f32_e32 v32, v32, v36
	v_sub_f32_e32 v33, v4, v33
	v_sub_f32_e32 v27, v7, v27
	;; [unrolled: 1-line block ×3, first 2 shown]
	v_add_f32_e32 v4, v37, v4
	v_add_f32_e32 v7, v53, v7
	;; [unrolled: 1-line block ×4, first 2 shown]
	v_mul_f32_e32 v1, 0x3f4a47b2, v1
	v_mul_f32_e32 v2, 0x3f4a47b2, v2
	;; [unrolled: 1-line block ×8, first 2 shown]
	v_fmamk_f32 v31, v31, 0xbf955555, v37
	v_fmamk_f32 v32, v32, 0xbf955555, v25
	v_fma_f32 v34, v38, s12, -v34
	v_fma_f32 v36, v39, s12, -v36
	;; [unrolled: 1-line block ×3, first 2 shown]
	v_fmac_f32_e32 v1, 0x3d64c772, v8
	v_fma_f32 v8, v39, s3, -v2
	v_fmac_f32_e32 v2, 0x3d64c772, v28
	v_fma_f32 v39, v29, s2, -v50
	;; [unrolled: 2-line block ×4, first 2 shown]
	v_fma_f32 v58, v27, s1, -v56
	v_add_f32_e32 v1, v1, v31
	v_add_f32_e32 v2, v2, v32
	;; [unrolled: 1-line block ×5, first 2 shown]
	v_fmac_f32_e32 v50, 0xbee1c552, v4
	v_fmac_f32_e32 v53, 0xbee1c552, v7
	;; [unrolled: 1-line block ×5, first 2 shown]
	v_add_f32_e32 v38, v38, v31
	v_fmac_f32_e32 v58, 0xbee1c552, v7
	v_add_f32_e32 v116, v53, v1
	v_sub_f32_e32 v27, v2, v50
	v_sub_f32_e32 v28, v8, v33
	;; [unrolled: 1-line block ×3, first 2 shown]
	v_add_f32_e32 v29, v39, v36
	v_add_f32_e32 v55, v57, v34
	v_sub_f32_e32 v31, v36, v39
	v_add_f32_e32 v32, v33, v8
	v_sub_f32_e32 v7, v1, v53
	v_add_f32_e32 v33, v50, v2
	v_add_f32_e32 v1, v140, v144
	;; [unrolled: 1-line block ×6, first 2 shown]
	v_sub_f32_e32 v57, v38, v58
	v_sub_f32_e32 v38, v130, v135
	;; [unrolled: 1-line block ×3, first 2 shown]
	v_add_f32_e32 v50, v137, v143
	v_add_f32_e32 v53, v128, v21
	v_sub_f32_e32 v58, v143, v137
	v_sub_f32_e32 v21, v21, v128
	v_add_f32_e32 v61, v34, v1
	v_add_f32_e32 v62, v36, v2
	v_sub_f32_e32 v4, v140, v144
	v_sub_f32_e32 v8, v141, v133
	;; [unrolled: 1-line block ×8, first 2 shown]
	v_add_f32_e32 v66, v21, v39
	v_sub_f32_e32 v70, v58, v38
	v_sub_f32_e32 v71, v21, v39
	v_add_f32_e32 v50, v50, v61
	v_add_f32_e32 v53, v53, v62
	;; [unrolled: 1-line block ×3, first 2 shown]
	v_sub_f32_e32 v72, v4, v58
	v_sub_f32_e32 v21, v8, v21
	;; [unrolled: 1-line block ×4, first 2 shown]
	v_add_f32_e32 v61, v66, v8
	v_add_f32_e32 v8, v51, v50
	;; [unrolled: 1-line block ×3, first 2 shown]
	v_mul_f32_e32 v1, 0x3f4a47b2, v1
	v_mul_f32_e32 v2, 0x3f4a47b2, v2
	;; [unrolled: 1-line block ×6, first 2 shown]
	v_add_f32_e32 v4, v65, v4
	v_mul_f32_e32 v62, 0xbf5ff5aa, v38
	v_mul_f32_e32 v65, 0xbf5ff5aa, v39
	v_fmamk_f32 v50, v50, 0xbf955555, v8
	v_fmamk_f32 v53, v53, 0xbf955555, v58
	v_fma_f32 v47, v63, s12, -v47
	v_fma_f32 v51, v64, s12, -v51
	;; [unrolled: 1-line block ×3, first 2 shown]
	v_fmac_f32_e32 v1, 0x3d64c772, v34
	v_fma_f32 v34, v64, s3, -v2
	v_fmac_f32_e32 v2, 0x3d64c772, v36
	v_fma_f32 v36, v38, s2, -v66
	v_fma_f32 v38, v39, s2, -v70
	v_fmac_f32_e32 v70, 0xbeae86e6, v21
	v_fmac_f32_e32 v66, 0xbeae86e6, v72
	v_fma_f32 v39, v72, s1, -v62
	v_fma_f32 v21, v21, s1, -v65
	v_add_f32_e32 v1, v1, v50
	v_add_f32_e32 v71, v2, v53
	;; [unrolled: 1-line block ×4, first 2 shown]
	v_fmac_f32_e32 v70, 0xbee1c552, v61
	v_fmac_f32_e32 v36, 0xbee1c552, v4
	;; [unrolled: 1-line block ×3, first 2 shown]
	v_add_f32_e32 v65, v63, v50
	v_add_f32_e32 v34, v34, v53
	v_fmac_f32_e32 v66, 0xbee1c552, v4
	v_fmac_f32_e32 v39, 0xbee1c552, v4
	;; [unrolled: 1-line block ×3, first 2 shown]
	v_add_f32_e32 v109, v70, v1
	v_sub_f32_e32 v53, v2, v38
	v_add_f32_e32 v63, v36, v51
	v_add_f32_e32 v47, v38, v2
	v_sub_f32_e32 v64, v51, v36
	v_sub_f32_e32 v2, v1, v70
	v_add_f32_e32 v1, v145, v151
	v_add_f32_e32 v4, v146, v152
	;; [unrolled: 1-line block ×4, first 2 shown]
	v_sub_f32_e32 v61, v71, v66
	v_add_f32_e32 v50, v21, v65
	v_sub_f32_e32 v62, v34, v39
	v_sub_f32_e32 v51, v65, v21
	v_add_f32_e32 v65, v39, v34
	v_add_f32_e32 v66, v66, v71
	v_sub_f32_e32 v21, v145, v151
	v_sub_f32_e32 v34, v146, v152
	;; [unrolled: 1-line block ×4, first 2 shown]
	v_add_f32_e32 v70, v131, v148
	v_add_f32_e32 v71, v129, v149
	v_sub_f32_e32 v72, v148, v131
	v_sub_f32_e32 v73, v149, v129
	v_add_f32_e32 v74, v36, v1
	v_add_f32_e32 v75, v38, v4
	v_sub_f32_e32 v76, v36, v1
	v_sub_f32_e32 v77, v38, v4
	;; [unrolled: 1-line block ×6, first 2 shown]
	v_add_f32_e32 v4, v72, v17
	v_add_f32_e32 v79, v73, v39
	v_sub_f32_e32 v80, v72, v17
	v_sub_f32_e32 v81, v73, v39
	;; [unrolled: 1-line block ×4, first 2 shown]
	v_add_f32_e32 v74, v70, v74
	v_add_f32_e32 v71, v71, v75
	v_sub_f32_e32 v72, v21, v72
	v_sub_f32_e32 v73, v34, v73
	v_add_f32_e32 v21, v4, v21
	v_add_f32_e32 v34, v79, v34
	;; [unrolled: 1-line block ×4, first 2 shown]
	v_mul_f32_e32 v1, 0x3f4a47b2, v1
	v_mul_f32_e32 v46, 0x3f4a47b2, v78
	v_mul_f32_e32 v49, 0x3d64c772, v36
	v_mul_f32_e32 v75, 0x3d64c772, v38
	v_mul_f32_e32 v78, 0x3f08b237, v80
	v_mul_f32_e32 v79, 0x3f08b237, v81
	v_mul_f32_e32 v80, 0xbf5ff5aa, v17
	v_mul_f32_e32 v81, 0xbf5ff5aa, v39
	v_fmamk_f32 v74, v74, 0xbf955555, v4
	v_fmamk_f32 v71, v71, 0xbf955555, v70
	v_fma_f32 v49, v76, s12, -v49
	v_fma_f32 v75, v77, s12, -v75
	;; [unrolled: 1-line block ×3, first 2 shown]
	v_fmac_f32_e32 v1, 0x3d64c772, v36
	v_fma_f32 v36, v77, s3, -v46
	v_fmac_f32_e32 v46, 0x3d64c772, v38
	v_fma_f32 v17, v17, s2, -v78
	;; [unrolled: 2-line block ×3, first 2 shown]
	v_fma_f32 v77, v72, s1, -v80
	v_fma_f32 v80, v73, s1, -v81
	v_fmac_f32_e32 v79, 0xbeae86e6, v73
	v_add_f32_e32 v81, v46, v71
	v_add_f32_e32 v49, v49, v74
	;; [unrolled: 1-line block ×5, first 2 shown]
	v_fmac_f32_e32 v78, 0xbee1c552, v21
	v_fmac_f32_e32 v17, 0xbee1c552, v21
	;; [unrolled: 1-line block ×5, first 2 shown]
	v_add_f32_e32 v1, v1, v74
	v_fmac_f32_e32 v79, 0xbee1c552, v34
	v_sub_f32_e32 v71, v81, v78
	v_add_f32_e32 v36, v80, v76
	v_sub_f32_e32 v72, v88, v77
	v_sub_f32_e32 v39, v49, v38
	v_add_f32_e32 v73, v17, v75
	v_add_f32_e32 v34, v38, v49
	v_sub_f32_e32 v74, v75, v17
	v_sub_f32_e32 v38, v76, v80
	v_add_f32_e32 v75, v77, v88
	v_add_f32_e32 v76, v78, v81
	;; [unrolled: 1-line block ×7, first 2 shown]
	v_sub_f32_e32 v1, v1, v79
	v_sub_f32_e32 v3, v154, v3
	;; [unrolled: 1-line block ×4, first 2 shown]
	v_add_f32_e32 v15, v179, v181
	v_add_f32_e32 v80, v180, v11
	v_sub_f32_e32 v81, v181, v179
	v_sub_f32_e32 v11, v11, v180
	v_add_f32_e32 v88, v77, v17
	v_add_f32_e32 v89, v78, v21
	v_sub_f32_e32 v49, v153, v183
	v_sub_f32_e32 v126, v77, v17
	;; [unrolled: 1-line block ×7, first 2 shown]
	v_add_f32_e32 v77, v81, v79
	v_add_f32_e32 v129, v11, v0
	v_sub_f32_e32 v130, v81, v79
	v_sub_f32_e32 v131, v11, v0
	;; [unrolled: 1-line block ×3, first 2 shown]
	v_add_f32_e32 v15, v15, v88
	v_add_f32_e32 v80, v80, v89
	v_sub_f32_e32 v81, v49, v81
	v_sub_f32_e32 v11, v3, v11
	;; [unrolled: 1-line block ×3, first 2 shown]
	v_add_f32_e32 v49, v77, v49
	v_add_f32_e32 v88, v129, v3
	;; [unrolled: 1-line block ×4, first 2 shown]
	v_mul_f32_e32 v17, 0x3f4a47b2, v17
	v_mul_f32_e32 v44, 0x3d64c772, v128
	v_mul_f32_e32 v45, 0x3d64c772, v78
	v_mul_f32_e32 v89, 0x3f08b237, v130
	v_mul_f32_e32 v129, 0x3f08b237, v131
	v_mul_f32_e32 v131, 0xbf5ff5aa, v0
	v_mul_f32_e32 v21, 0x3f4a47b2, v21
	v_fmamk_f32 v15, v15, 0xbf955555, v3
	v_fmamk_f32 v80, v80, 0xbf955555, v77
	v_fma_f32 v44, v126, s12, -v44
	v_fma_f32 v45, v127, s12, -v45
	;; [unrolled: 1-line block ×3, first 2 shown]
	v_fmac_f32_e32 v17, 0x3d64c772, v128
	v_fma_f32 v128, v79, s2, -v89
	v_fma_f32 v131, v11, s1, -v131
	v_mul_f32_e32 v130, 0xbf5ff5aa, v79
	v_fma_f32 v127, v127, s3, -v21
	v_fmac_f32_e32 v21, 0x3d64c772, v78
	v_add_f32_e32 v132, v17, v15
	v_add_f32_e32 v17, v45, v80
	;; [unrolled: 1-line block ×3, first 2 shown]
	v_fmac_f32_e32 v128, 0xbee1c552, v49
	v_fmac_f32_e32 v131, 0xbee1c552, v88
	;; [unrolled: 1-line block ×3, first 2 shown]
	v_fma_f32 v0, v0, s2, -v129
	v_fmac_f32_e32 v129, 0xbeae86e6, v11
	v_fma_f32 v130, v81, s1, -v130
	v_add_f32_e32 v133, v21, v80
	v_add_f32_e32 v11, v44, v15
	;; [unrolled: 1-line block ×5, first 2 shown]
	v_sub_f32_e32 v81, v17, v128
	v_sub_f32_e32 v17, v45, v131
	v_mov_b32_e32 v45, 2
	v_fmac_f32_e32 v130, 0xbee1c552, v49
	v_lshlrev_b32_sdwa v43, v45, v43 dst_sel:DWORD dst_unused:UNUSED_PAD src0_sel:DWORD src1_sel:BYTE_0
	v_fmac_f32_e32 v129, 0xbee1c552, v88
	v_fmac_f32_e32 v0, 0xbee1c552, v88
	v_sub_f32_e32 v79, v126, v130
	v_add_f32_e32 v88, v130, v126
	v_add3_u32 v126, 0, v42, v43
	v_lshlrev_b32_sdwa v9, v45, v9 dst_sel:DWORD dst_unused:UNUSED_PAD src0_sel:DWORD src1_sel:BYTE_0
	ds_write2_b32 v126, v84, v125 offset1:7
	ds_write2_b32 v126, v118, v122 offset0:14 offset1:21
	ds_write2_b32 v126, v117, v120 offset0:28 offset1:35
	ds_write_b32 v126, v48 offset:168
	v_add3_u32 v117, 0, v5, v9
	v_mul_u32_u24_e32 v5, 0xc4, v13
	v_lshlrev_b32_sdwa v9, v45, v30 dst_sel:DWORD dst_unused:UNUSED_PAD src0_sel:DWORD src1_sel:BYTE_0
	v_add3_u32 v13, 0, v5, v9
	v_mul_u32_u24_e32 v5, 0xc4, v24
	v_lshlrev_b32_sdwa v9, v45, v26 dst_sel:DWORD dst_unused:UNUSED_PAD src0_sel:DWORD src1_sel:BYTE_0
	v_add3_u32 v24, 0, v5, v9
	ds_write2_b32 v117, v54, v124 offset1:7
	ds_write2_b32 v117, v112, v114 offset0:14 offset1:21
	ds_write2_b32 v117, v111, v113 offset0:28 offset1:35
	ds_write_b32 v117, v35 offset:168
	ds_write2_b32 v13, v52, v123 offset1:7
	ds_write2_b32 v13, v86, v110 offset0:14 offset1:21
	ds_write2_b32 v13, v85, v94 offset0:28 offset1:35
	ds_write_b32 v13, v14 offset:168
	;; [unrolled: 4-line block ×3, first 2 shown]
	v_mul_u32_u24_e32 v5, 0xc4, v20
	v_lshlrev_b32_sdwa v7, v45, v18 dst_sel:DWORD dst_unused:UNUSED_PAD src0_sel:DWORD src1_sel:BYTE_0
	v_add3_u32 v26, 0, v5, v7
	ds_write2_b32 v26, v8, v109 offset1:7
	ds_write2_b32 v26, v50, v53 offset0:14 offset1:21
	ds_write2_b32 v26, v47, v51 offset0:28 offset1:35
	ds_write_b32 v26, v2 offset:168
	v_mul_u32_u24_e32 v2, 0xc4, v16
	v_lshlrev_b32_e32 v5, 2, v19
	v_add3_u32 v30, 0, v2, v5
	ds_write2_b32 v30, v4, v46 offset1:7
	ds_write2_b32 v30, v36, v39 offset0:14 offset1:21
	ds_write2_b32 v30, v34, v38 offset0:28 offset1:35
	ds_write_b32 v30, v1 offset:168
	v_mul_u32_u24_e32 v1, 0xc4, v6
	v_lshlrev_b32_e32 v2, 2, v10
	v_fmac_f32_e32 v89, 0xbee1c552, v49
	v_add_f32_e32 v44, v129, v132
	v_sub_f32_e32 v21, v11, v0
	v_add_f32_e32 v11, v0, v11
	v_sub_f32_e32 v0, v132, v129
	v_add3_u32 v111, 0, v1, v2
	v_sub_f32_e32 v78, v133, v89
	v_add_f32_e32 v89, v89, v133
	ds_write2_b32 v111, v3, v44 offset1:7
	ds_write2_b32 v111, v15, v21 offset0:14 offset1:21
	ds_write2_b32 v111, v11, v17 offset0:28 offset1:35
	ds_write_b32 v111, v0 offset:168
	s_waitcnt lgkmcnt(0)
	; wave barrier
	s_waitcnt lgkmcnt(0)
	ds_read_b32 v110, v172
	ds_read2_b32 v[56:57], v161 offset0:87 offset1:136
	ds_read2_b32 v[18:19], v167 offset0:125 offset1:174
	;; [unrolled: 1-line block ×6, first 2 shown]
	ds_read_b32 v109, v178
	ds_read2_b32 v[50:51], v171 offset0:95 offset1:144
	ds_read2_b32 v[48:49], v170 offset0:141 offset1:190
	ds_read2_b32 v[46:47], v157 offset0:59 offset1:108
	ds_read_b32 v94, v177
	ds_read2_b32 v[44:45], v161 offset0:185 offset1:234
	ds_read2_b32 v[42:43], v162 offset0:103 offset1:152
	ds_read2_b32 v[38:39], v166 offset0:21 offset1:70
	;; [unrolled: 4-line block ×5, first 2 shown]
	ds_read_b32 v82, v87
	s_waitcnt lgkmcnt(0)
	; wave barrier
	s_waitcnt lgkmcnt(0)
	ds_write2_b32 v126, v93, v108 offset1:7
	ds_write2_b32 v126, v102, v105 offset0:14 offset1:21
	ds_write2_b32 v126, v100, v104 offset0:28 offset1:35
	ds_write_b32 v126, v103 offset:168
	ds_write2_b32 v117, v90, v106 offset1:7
	ds_write2_b32 v117, v96, v99 offset0:14 offset1:21
	ds_write2_b32 v117, v95, v98 offset0:28 offset1:35
	ds_write_b32 v117, v59 offset:168
	;; [unrolled: 4-line block ×7, first 2 shown]
	v_mul_u32_u24_e32 v12, 6, v159
	v_lshlrev_b32_e32 v12, 3, v12
	s_waitcnt lgkmcnt(0)
	; wave barrier
	s_waitcnt lgkmcnt(0)
	ds_read_b32 v90, v172
	ds_read2_b32 v[98:99], v161 offset0:87 offset1:136
	ds_read2_b32 v[30:31], v167 offset0:125 offset1:174
	;; [unrolled: 1-line block ×6, first 2 shown]
	ds_read_b32 v89, v178
	ds_read2_b32 v[80:81], v171 offset0:95 offset1:144
	ds_read2_b32 v[78:79], v170 offset0:141 offset1:190
	ds_read2_b32 v[76:77], v157 offset0:59 offset1:108
	ds_read_b32 v88, v177
	ds_read2_b32 v[74:75], v161 offset0:185 offset1:234
	ds_read2_b32 v[72:73], v162 offset0:103 offset1:152
	ds_read2_b32 v[70:71], v166 offset0:21 offset1:70
	;; [unrolled: 4-line block ×5, first 2 shown]
	ds_read_b32 v113, v87
	global_load_dwordx4 v[122:125], v12, s[4:5] offset:368
	global_load_dwordx4 v[126:129], v12, s[4:5] offset:352
	;; [unrolled: 1-line block ×3, first 2 shown]
	s_waitcnt vmcnt(2) lgkmcnt(14)
	v_mul_f32_e32 v112, v23, v125
	v_fmac_f32_e32 v112, v9, v124
	s_waitcnt vmcnt(0)
	v_mul_f32_e32 v13, v56, v131
	v_fma_f32 v106, v98, v130, -v13
	v_mul_f32_e32 v13, v19, v133
	v_fma_f32 v104, v31, v132, -v13
	v_mul_f32_e32 v13, v54, v127
	v_mul_f32_e32 v9, v9, v125
	;; [unrolled: 1-line block ×3, first 2 shown]
	v_fma_f32 v98, v134, v126, -v13
	v_mul_f32_e32 v13, v15, v129
	v_mul_f32_e32 v108, v136, v123
	v_fma_f32 v118, v23, v124, -v9
	v_mul_f32_e32 v9, v57, v131
	v_mul_f32_e32 v100, v27, v129
	v_fma_f32 v103, v27, v128, -v13
	v_fmac_f32_e32 v108, v52, v122
	v_mul_f32_e32 v13, v52, v123
	v_fma_f32 v52, v99, v130, -v9
	v_mul_f32_e32 v27, v80, v133
	v_mul_f32_e32 v9, v50, v133
	v_mul_f32_e32 v102, v31, v133
	v_mul_f32_e32 v95, v134, v127
	v_fmac_f32_e32 v27, v50, v132
	v_fma_f32 v50, v80, v132, -v9
	v_mul_f32_e32 v31, v135, v127
	v_mul_f32_e32 v9, v55, v127
	v_fmac_f32_e32 v95, v54, v126
	v_fmac_f32_e32 v31, v55, v126
	v_fma_f32 v54, v135, v126, -v9
	v_mul_f32_e32 v55, v78, v129
	v_mul_f32_e32 v9, v48, v129
	v_fmac_f32_e32 v105, v56, v130
	v_mul_f32_e32 v23, v99, v131
	v_fmac_f32_e32 v55, v48, v128
	v_fma_f32 v48, v78, v128, -v9
	v_mul_f32_e32 v56, v137, v123
	v_mul_f32_e32 v9, v53, v123
	v_fmac_f32_e32 v23, v57, v130
	v_fmac_f32_e32 v56, v53, v122
	v_fma_f32 v53, v137, v122, -v9
	v_mul_f32_e32 v57, v76, v125
	v_mul_f32_e32 v9, v46, v125
	v_fmac_f32_e32 v57, v46, v124
	v_fma_f32 v46, v76, v124, -v9
	v_mul_lo_u16_sdwa v9, v107, s11 dst_sel:DWORD dst_unused:UNUSED_PAD src0_sel:BYTE_0 src1_sel:DWORD
	v_fma_f32 v111, v136, v122, -v13
	v_sub_u16_sdwa v13, v107, v9 dst_sel:DWORD dst_unused:UNUSED_PAD src0_sel:DWORD src1_sel:BYTE_1
	v_lshrrev_b16_e32 v13, 1, v13
	v_and_b32_e32 v13, 0x7f, v13
	v_add_u16_sdwa v9, v13, v9 dst_sel:DWORD dst_unused:UNUSED_PAD src0_sel:DWORD src1_sel:BYTE_1
	v_lshrrev_b16_e32 v9, 5, v9
	v_mul_lo_u16_e32 v9, 49, v9
	v_sub_u16_e32 v9, v107, v9
	v_fmac_f32_e32 v100, v15, v128
	v_and_b32_e32 v15, 0xff, v9
	v_mul_u32_u24_e32 v9, 6, v15
	v_lshlrev_b32_e32 v9, 3, v9
	v_fmac_f32_e32 v102, v19, v132
	global_load_dwordx4 v[122:125], v9, s[4:5] offset:368
	global_load_dwordx4 v[128:131], v9, s[4:5] offset:352
	;; [unrolled: 1-line block ×3, first 2 shown]
	s_waitcnt vmcnt(1)
	v_mul_f32_e32 v96, v72, v129
	s_waitcnt vmcnt(0)
	v_mul_f32_e32 v9, v44, v133
	v_fma_f32 v99, v74, v132, -v9
	v_mul_f32_e32 v9, v51, v135
	v_fma_f32 v127, v81, v134, -v9
	v_mul_f32_e32 v9, v42, v129
	v_fmac_f32_e32 v96, v42, v128
	v_fma_f32 v128, v72, v128, -v9
	v_mul_f32_e32 v9, v49, v131
	v_mul_f32_e32 v129, v79, v131
	v_fma_f32 v79, v79, v130, -v9
	v_mul_f32_e32 v9, v38, v123
	s_waitcnt lgkmcnt(13)
	v_fma_f32 v131, v70, v122, -v9
	v_mul_f32_e32 v9, v47, v125
	v_mul_f32_e32 v93, v74, v133
	v_fma_f32 v133, v77, v124, -v9
	v_mul_lo_u16_sdwa v9, v115, s11 dst_sel:DWORD dst_unused:UNUSED_PAD src0_sel:BYTE_0 src1_sel:DWORD
	v_sub_u16_sdwa v13, v115, v9 dst_sel:DWORD dst_unused:UNUSED_PAD src0_sel:DWORD src1_sel:BYTE_1
	v_lshrrev_b16_e32 v13, 1, v13
	v_and_b32_e32 v13, 0x7f, v13
	v_add_u16_sdwa v9, v13, v9 dst_sel:DWORD dst_unused:UNUSED_PAD src0_sel:DWORD src1_sel:BYTE_1
	v_lshrrev_b16_e32 v9, 5, v9
	v_mul_lo_u16_e32 v9, 49, v9
	v_sub_u16_e32 v9, v115, v9
	v_and_b32_e32 v13, 0xff, v9
	v_mul_u32_u24_e32 v9, 6, v13
	v_fmac_f32_e32 v93, v44, v132
	v_mul_f32_e32 v44, v81, v135
	v_fmac_f32_e32 v129, v49, v130
	v_mul_f32_e32 v130, v70, v123
	v_mul_f32_e32 v132, v77, v125
	v_lshlrev_b32_e32 v9, 3, v9
	v_fmac_f32_e32 v44, v51, v134
	v_fmac_f32_e32 v130, v38, v122
	;; [unrolled: 1-line block ×3, first 2 shown]
	global_load_dwordx4 v[134:137], v9, s[4:5] offset:368
	global_load_dwordx4 v[122:125], v9, s[4:5] offset:352
	;; [unrolled: 1-line block ×3, first 2 shown]
	v_lshl_add_u32 v13, v13, 2, 0
	s_waitcnt vmcnt(1) lgkmcnt(10)
	v_mul_f32_e32 v120, v66, v125
	s_waitcnt vmcnt(0)
	v_mul_f32_e32 v9, v45, v139
	v_fma_f32 v80, v75, v138, -v9
	v_mul_f32_e32 v9, v36, v141
	v_fma_f32 v81, v68, v140, -v9
	v_mul_f32_e32 v9, v43, v123
	v_mul_f32_e32 v76, v68, v141
	;; [unrolled: 1-line block ×3, first 2 shown]
	v_fma_f32 v73, v73, v122, -v9
	v_mul_f32_e32 v9, v34, v125
	s_waitcnt lgkmcnt(9)
	v_mul_f32_e32 v125, v64, v137
	v_fmac_f32_e32 v125, v6, v136
	v_mul_f32_e32 v6, v6, v137
	v_fmac_f32_e32 v68, v43, v122
	v_fma_f32 v122, v66, v124, -v9
	v_mul_f32_e32 v9, v39, v135
	v_fma_f32 v126, v64, v136, -v6
	v_mul_lo_u16_sdwa v6, v119, s11 dst_sel:DWORD dst_unused:UNUSED_PAD src0_sel:BYTE_0 src1_sel:DWORD
	v_fmac_f32_e32 v120, v34, v124
	v_fma_f32 v124, v71, v134, -v9
	v_sub_u16_sdwa v9, v119, v6 dst_sel:DWORD dst_unused:UNUSED_PAD src0_sel:DWORD src1_sel:BYTE_1
	v_lshrrev_b16_e32 v9, 1, v9
	v_and_b32_e32 v9, 0x7f, v9
	v_add_u16_sdwa v6, v9, v6 dst_sel:DWORD dst_unused:UNUSED_PAD src0_sel:DWORD src1_sel:BYTE_1
	v_lshrrev_b16_e32 v6, 5, v6
	v_mul_lo_u16_e32 v6, 49, v6
	v_sub_u16_e32 v6, v119, v6
	v_and_b32_e32 v9, 0xff, v6
	v_mul_u32_u24_e32 v6, 6, v9
	v_mul_f32_e32 v51, v75, v139
	v_mul_f32_e32 v123, v71, v135
	v_lshlrev_b32_e32 v6, 3, v6
	v_fmac_f32_e32 v51, v45, v138
	v_fmac_f32_e32 v76, v36, v140
	v_fmac_f32_e32 v123, v39, v134
	global_load_dwordx4 v[134:137], v6, s[4:5] offset:368
	global_load_dwordx4 v[138:141], v6, s[4:5] offset:352
	;; [unrolled: 1-line block ×3, first 2 shown]
	s_movk_i32 s11, 0x4e5f
	v_lshl_add_u32 v9, v9, 2, 0
	s_waitcnt vmcnt(2) lgkmcnt(5)
	v_mul_f32_e32 v45, v58, v135
	v_fmac_f32_e32 v45, v0, v134
	s_waitcnt vmcnt(0)
	v_mul_f32_e32 v34, v62, v143
	v_fmac_f32_e32 v34, v4, v142
	v_mul_f32_e32 v4, v4, v143
	v_mul_f32_e32 v36, v69, v145
	v_fma_f32 v38, v62, v142, -v4
	v_fmac_f32_e32 v36, v37, v144
	v_mul_f32_e32 v4, v37, v145
	v_mul_f32_e32 v37, v60, v139
	;; [unrolled: 1-line block ×3, first 2 shown]
	v_fmac_f32_e32 v37, v2, v138
	v_mul_f32_e32 v2, v2, v139
	v_fma_f32 v47, v58, v134, -v0
	v_mul_f32_e32 v0, v7, v137
	v_fma_f32 v42, v60, v138, -v2
	v_mul_f32_e32 v43, v67, v141
	v_mul_f32_e32 v2, v35, v141
	v_fma_f32 v60, v65, v136, -v0
	v_mul_u32_u24_sdwa v0, v101, s11 dst_sel:DWORD dst_unused:UNUSED_PAD src0_sel:WORD_0 src1_sel:DWORD
	v_fmac_f32_e32 v43, v35, v140
	v_fma_f32 v35, v67, v140, -v2
	v_sub_u16_sdwa v2, v101, v0 dst_sel:DWORD dst_unused:UNUSED_PAD src0_sel:DWORD src1_sel:WORD_1
	v_lshrrev_b16_e32 v2, 1, v2
	v_add_u16_sdwa v0, v2, v0 dst_sel:DWORD dst_unused:UNUSED_PAD src0_sel:DWORD src1_sel:WORD_1
	v_lshrrev_b16_e32 v0, 5, v0
	v_mul_lo_u16_e32 v0, 49, v0
	v_sub_u16_e32 v19, v101, v0
	v_mul_u32_u24_e32 v0, 6, v19
	v_mul_f32_e32 v49, v65, v137
	v_lshlrev_b32_e32 v0, 3, v0
	v_fmac_f32_e32 v49, v7, v136
	global_load_dwordx4 v[64:67], v0, s[4:5] offset:368
	global_load_dwordx4 v[140:143], v0, s[4:5] offset:352
	;; [unrolled: 1-line block ×3, first 2 shown]
	v_fma_f32 v39, v69, v144, -v4
	v_lshl_add_u32 v19, v19, 2, 0
	s_waitcnt vmcnt(0)
	v_mul_f32_e32 v0, v5, v137
	v_mul_f32_e32 v134, v63, v137
	v_fma_f32 v137, v63, v136, -v0
	s_waitcnt lgkmcnt(3)
	v_mul_f32_e32 v135, v32, v139
	v_mul_f32_e32 v0, v20, v139
	v_fmac_f32_e32 v135, v20, v138
	v_fma_f32 v138, v32, v138, -v0
	v_mul_f32_e32 v0, v3, v141
	v_fmac_f32_e32 v134, v5, v136
	v_mul_f32_e32 v136, v61, v141
	v_fma_f32 v139, v61, v140, -v0
	v_mul_f32_e32 v0, v16, v143
	v_fmac_f32_e32 v136, v3, v140
	s_waitcnt lgkmcnt(2)
	v_mul_f32_e32 v140, v28, v143
	v_fma_f32 v28, v28, v142, -v0
	v_mul_f32_e32 v0, v1, v65
	v_fmac_f32_e32 v140, v16, v142
	v_fma_f32 v142, v59, v64, -v0
	v_mul_f32_e32 v0, v10, v67
	v_mul_f32_e32 v141, v59, v65
	s_waitcnt lgkmcnt(1)
	v_fma_f32 v144, v24, v66, -v0
	v_mul_u32_u24_sdwa v0, v163, s11 dst_sel:DWORD dst_unused:UNUSED_PAD src0_sel:WORD_0 src1_sel:DWORD
	v_fmac_f32_e32 v141, v1, v64
	v_sub_u16_sdwa v1, v163, v0 dst_sel:DWORD dst_unused:UNUSED_PAD src0_sel:DWORD src1_sel:WORD_1
	v_lshrrev_b16_e32 v1, 1, v1
	v_add_u16_sdwa v0, v1, v0 dst_sel:DWORD dst_unused:UNUSED_PAD src0_sel:DWORD src1_sel:WORD_1
	v_lshrrev_b16_e32 v0, 5, v0
	v_mul_f32_e32 v143, v24, v67
	v_mul_lo_u16_e32 v0, 49, v0
	v_fmac_f32_e32 v143, v10, v66
	v_sub_u16_e32 v10, v163, v0
	v_mul_u32_u24_e32 v0, 6, v10
	v_lshlrev_b32_e32 v16, 3, v0
	global_load_dwordx4 v[0:3], v16, s[4:5] offset:368
	global_load_dwordx4 v[4:7], v16, s[4:5] offset:352
	;; [unrolled: 1-line block ×3, first 2 shown]
	s_waitcnt lgkmcnt(0)
	; wave barrier
	s_waitcnt lgkmcnt(0)
	v_lshl_add_u32 v10, v10, 2, 0
	s_waitcnt vmcnt(2)
	v_mul_f32_e32 v151, v25, v3
	s_waitcnt vmcnt(1)
	v_mul_f32_e32 v148, v26, v5
	v_mul_f32_e32 v5, v14, v5
	v_fmac_f32_e32 v148, v14, v4
	v_fma_f32 v14, v26, v4, -v5
	v_mul_f32_e32 v149, v29, v7
	v_mul_f32_e32 v4, v17, v7
	v_fmac_f32_e32 v149, v17, v6
	v_fma_f32 v17, v29, v6, -v4
	v_mul_f32_e32 v29, v22, v1
	v_mul_f32_e32 v1, v8, v1
	s_waitcnt vmcnt(0)
	v_mul_f32_e32 v16, v18, v63
	v_fmac_f32_e32 v29, v8, v0
	v_fma_f32 v150, v22, v0, -v1
	v_mul_f32_e32 v0, v11, v3
	v_mul_f32_e32 v145, v30, v63
	v_fma_f32 v146, v30, v62, -v16
	v_mul_f32_e32 v30, v33, v65
	v_mul_f32_e32 v16, v21, v65
	v_fma_f32 v152, v25, v2, -v0
	v_add_f32_e32 v0, v105, v112
	v_add_f32_e32 v1, v106, v118
	;; [unrolled: 1-line block ×4, first 2 shown]
	v_fmac_f32_e32 v145, v18, v62
	v_fmac_f32_e32 v30, v21, v64
	v_fma_f32 v147, v33, v64, -v16
	v_fmac_f32_e32 v151, v11, v2
	v_sub_f32_e32 v2, v105, v112
	v_sub_f32_e32 v6, v102, v108
	;; [unrolled: 1-line block ×3, first 2 shown]
	v_add_f32_e32 v8, v95, v100
	v_add_f32_e32 v11, v98, v103
	v_sub_f32_e32 v16, v100, v95
	v_sub_f32_e32 v18, v103, v98
	v_add_f32_e32 v20, v4, v0
	v_add_f32_e32 v21, v5, v1
	v_sub_f32_e32 v3, v106, v118
	v_sub_f32_e32 v22, v4, v0
	;; [unrolled: 1-line block ×7, first 2 shown]
	v_add_f32_e32 v25, v16, v6
	v_add_f32_e32 v26, v18, v7
	v_sub_f32_e32 v32, v16, v6
	v_sub_f32_e32 v33, v18, v7
	;; [unrolled: 1-line block ×3, first 2 shown]
	v_add_f32_e32 v8, v8, v20
	v_add_f32_e32 v11, v11, v21
	v_sub_f32_e32 v58, v2, v16
	v_sub_f32_e32 v18, v3, v18
	;; [unrolled: 1-line block ×3, first 2 shown]
	v_add_f32_e32 v2, v25, v2
	v_add_f32_e32 v3, v26, v3
	;; [unrolled: 1-line block ×4, first 2 shown]
	v_mul_f32_e32 v0, 0x3f4a47b2, v0
	v_mul_f32_e32 v1, 0x3f4a47b2, v1
	;; [unrolled: 1-line block ×8, first 2 shown]
	v_fmamk_f32 v8, v8, 0xbf955555, v16
	v_fmamk_f32 v11, v11, 0xbf955555, v65
	v_fma_f32 v20, v22, s12, -v20
	v_fma_f32 v21, v24, s12, -v21
	;; [unrolled: 1-line block ×3, first 2 shown]
	v_fmac_f32_e32 v0, 0x3d64c772, v4
	v_fma_f32 v4, v24, s3, -v1
	v_fmac_f32_e32 v1, 0x3d64c772, v5
	v_fma_f32 v5, v6, s2, -v25
	;; [unrolled: 2-line block ×4, first 2 shown]
	v_fma_f32 v18, v18, s1, -v33
	v_add_f32_e32 v0, v0, v8
	v_add_f32_e32 v1, v1, v11
	;; [unrolled: 1-line block ×4, first 2 shown]
	v_fmac_f32_e32 v25, 0xbee1c552, v2
	v_fmac_f32_e32 v26, 0xbee1c552, v3
	;; [unrolled: 1-line block ×4, first 2 shown]
	v_add_f32_e32 v20, v20, v8
	v_add_f32_e32 v8, v22, v8
	v_fmac_f32_e32 v6, 0xbee1c552, v3
	v_fmac_f32_e32 v18, 0xbee1c552, v3
	v_add_f32_e32 v118, v26, v0
	v_sub_f32_e32 v100, v1, v25
	v_sub_f32_e32 v102, v4, v7
	v_add_f32_e32 v103, v5, v21
	v_sub_f32_e32 v104, v21, v5
	v_add_f32_e32 v105, v7, v4
	;; [unrolled: 2-line block ×3, first 2 shown]
	v_add_f32_e32 v0, v23, v57
	v_add_f32_e32 v1, v52, v46
	;; [unrolled: 1-line block ×5, first 2 shown]
	v_sub_f32_e32 v75, v20, v6
	v_add_f32_e32 v70, v6, v20
	v_sub_f32_e32 v74, v8, v18
	v_sub_f32_e32 v2, v23, v57
	;; [unrolled: 1-line block ×4, first 2 shown]
	v_add_f32_e32 v8, v31, v55
	v_add_f32_e32 v11, v54, v48
	v_sub_f32_e32 v18, v55, v31
	v_sub_f32_e32 v20, v48, v54
	v_add_f32_e32 v21, v4, v0
	v_add_f32_e32 v22, v5, v1
	v_sub_f32_e32 v3, v52, v46
	v_sub_f32_e32 v23, v4, v0
	;; [unrolled: 1-line block ×7, first 2 shown]
	v_add_f32_e32 v25, v18, v6
	v_add_f32_e32 v26, v20, v7
	v_sub_f32_e32 v27, v18, v6
	v_sub_f32_e32 v31, v20, v7
	;; [unrolled: 1-line block ×3, first 2 shown]
	v_add_f32_e32 v8, v8, v21
	v_add_f32_e32 v11, v11, v22
	v_sub_f32_e32 v18, v2, v18
	v_sub_f32_e32 v20, v3, v20
	;; [unrolled: 1-line block ×3, first 2 shown]
	v_add_f32_e32 v2, v25, v2
	v_add_f32_e32 v3, v26, v3
	;; [unrolled: 1-line block ×4, first 2 shown]
	v_mul_f32_e32 v0, 0x3f4a47b2, v0
	v_mul_f32_e32 v1, 0x3f4a47b2, v1
	;; [unrolled: 1-line block ×8, first 2 shown]
	v_fmamk_f32 v8, v8, 0xbf955555, v72
	v_fmamk_f32 v11, v11, 0xbf955555, v108
	v_fma_f32 v21, v23, s12, -v21
	v_fma_f32 v22, v24, s12, -v22
	;; [unrolled: 1-line block ×3, first 2 shown]
	v_fmac_f32_e32 v0, 0x3d64c772, v4
	v_fma_f32 v4, v24, s3, -v1
	v_fmac_f32_e32 v1, 0x3d64c772, v5
	v_fma_f32 v5, v6, s2, -v25
	;; [unrolled: 2-line block ×4, first 2 shown]
	v_fma_f32 v18, v20, s1, -v31
	v_add_f32_e32 v0, v0, v8
	v_add_f32_e32 v1, v1, v11
	;; [unrolled: 1-line block ×5, first 2 shown]
	v_fmac_f32_e32 v25, 0xbee1c552, v2
	v_fmac_f32_e32 v26, 0xbee1c552, v3
	;; [unrolled: 1-line block ×4, first 2 shown]
	v_add_f32_e32 v8, v23, v8
	v_fmac_f32_e32 v6, 0xbee1c552, v3
	v_fmac_f32_e32 v18, 0xbee1c552, v3
	v_add_f32_e32 v77, v26, v0
	v_sub_f32_e32 v111, v1, v25
	v_sub_f32_e32 v112, v4, v7
	v_add_f32_e32 v109, v5, v21
	v_sub_f32_e32 v110, v21, v5
	v_add_f32_e32 v95, v7, v4
	;; [unrolled: 2-line block ×3, first 2 shown]
	v_add_f32_e32 v0, v93, v132
	v_add_f32_e32 v1, v99, v133
	;; [unrolled: 1-line block ×5, first 2 shown]
	v_sub_f32_e32 v66, v20, v6
	v_add_f32_e32 v69, v6, v20
	v_sub_f32_e32 v64, v8, v18
	v_sub_f32_e32 v2, v93, v132
	v_sub_f32_e32 v6, v44, v130
	v_sub_f32_e32 v7, v127, v131
	v_add_f32_e32 v8, v96, v129
	v_add_f32_e32 v11, v128, v79
	v_sub_f32_e32 v18, v129, v96
	v_sub_f32_e32 v20, v79, v128
	v_add_f32_e32 v21, v4, v0
	v_add_f32_e32 v22, v5, v1
	v_sub_f32_e32 v3, v99, v133
	v_sub_f32_e32 v23, v4, v0
	;; [unrolled: 1-line block ×7, first 2 shown]
	v_add_f32_e32 v25, v18, v6
	v_add_f32_e32 v26, v20, v7
	v_sub_f32_e32 v27, v18, v6
	v_sub_f32_e32 v31, v20, v7
	v_sub_f32_e32 v6, v6, v2
	v_add_f32_e32 v8, v8, v21
	v_add_f32_e32 v11, v11, v22
	v_sub_f32_e32 v18, v2, v18
	v_sub_f32_e32 v20, v3, v20
	;; [unrolled: 1-line block ×3, first 2 shown]
	v_add_f32_e32 v2, v25, v2
	v_add_f32_e32 v3, v26, v3
	;; [unrolled: 1-line block ×4, first 2 shown]
	v_mul_f32_e32 v0, 0x3f4a47b2, v0
	v_mul_f32_e32 v1, 0x3f4a47b2, v1
	;; [unrolled: 1-line block ×8, first 2 shown]
	v_fmamk_f32 v8, v8, 0xbf955555, v44
	v_fmamk_f32 v11, v11, 0xbf955555, v88
	v_fma_f32 v21, v23, s12, -v21
	v_fma_f32 v22, v24, s12, -v22
	;; [unrolled: 1-line block ×3, first 2 shown]
	v_fmac_f32_e32 v0, 0x3d64c772, v4
	v_fma_f32 v4, v24, s3, -v1
	v_fmac_f32_e32 v1, 0x3d64c772, v5
	v_fma_f32 v5, v6, s2, -v25
	;; [unrolled: 2-line block ×4, first 2 shown]
	v_fma_f32 v18, v20, s1, -v31
	v_add_f32_e32 v0, v0, v8
	v_add_f32_e32 v1, v1, v11
	;; [unrolled: 1-line block ×5, first 2 shown]
	v_fmac_f32_e32 v25, 0xbee1c552, v2
	v_fmac_f32_e32 v26, 0xbee1c552, v3
	;; [unrolled: 1-line block ×4, first 2 shown]
	v_add_f32_e32 v8, v23, v8
	v_fmac_f32_e32 v6, 0xbee1c552, v3
	v_fmac_f32_e32 v18, 0xbee1c552, v3
	v_add_f32_e32 v79, v26, v0
	v_sub_f32_e32 v99, v1, v25
	v_sub_f32_e32 v90, v4, v7
	v_add_f32_e32 v94, v5, v21
	v_sub_f32_e32 v89, v21, v5
	v_add_f32_e32 v93, v7, v4
	;; [unrolled: 2-line block ×3, first 2 shown]
	v_add_f32_e32 v0, v51, v125
	v_add_f32_e32 v1, v80, v126
	;; [unrolled: 1-line block ×5, first 2 shown]
	v_sub_f32_e32 v62, v20, v6
	v_add_f32_e32 v58, v6, v20
	v_sub_f32_e32 v61, v8, v18
	v_sub_f32_e32 v6, v76, v123
	;; [unrolled: 1-line block ×3, first 2 shown]
	v_add_f32_e32 v8, v68, v120
	v_add_f32_e32 v11, v73, v122
	v_sub_f32_e32 v18, v120, v68
	v_sub_f32_e32 v20, v122, v73
	v_add_f32_e32 v21, v4, v0
	v_add_f32_e32 v22, v5, v1
	v_sub_f32_e32 v2, v51, v125
	v_sub_f32_e32 v3, v80, v126
	;; [unrolled: 1-line block ×8, first 2 shown]
	v_add_f32_e32 v25, v18, v6
	v_add_f32_e32 v26, v20, v7
	v_sub_f32_e32 v27, v18, v6
	v_sub_f32_e32 v31, v20, v7
	v_add_f32_e32 v21, v8, v21
	v_add_f32_e32 v11, v11, v22
	v_sub_f32_e32 v18, v2, v18
	v_sub_f32_e32 v20, v3, v20
	;; [unrolled: 1-line block ×4, first 2 shown]
	v_add_f32_e32 v2, v25, v2
	v_add_f32_e32 v3, v26, v3
	;; [unrolled: 1-line block ×4, first 2 shown]
	v_mul_f32_e32 v0, 0x3f4a47b2, v0
	v_mul_f32_e32 v1, 0x3f4a47b2, v1
	;; [unrolled: 1-line block ×8, first 2 shown]
	v_fmamk_f32 v21, v21, 0xbf955555, v33
	v_fmamk_f32 v11, v11, 0xbf955555, v8
	v_fma_f32 v22, v23, s12, -v22
	v_fma_f32 v25, v24, s12, -v25
	;; [unrolled: 1-line block ×3, first 2 shown]
	v_fmac_f32_e32 v0, 0x3d64c772, v4
	v_fma_f32 v4, v24, s3, -v1
	v_fmac_f32_e32 v1, 0x3d64c772, v5
	v_fma_f32 v5, v6, s2, -v26
	;; [unrolled: 2-line block ×4, first 2 shown]
	v_fma_f32 v18, v20, s1, -v46
	v_add_f32_e32 v0, v0, v21
	v_add_f32_e32 v1, v1, v11
	;; [unrolled: 1-line block ×4, first 2 shown]
	v_fmac_f32_e32 v26, 0xbee1c552, v2
	v_fmac_f32_e32 v27, 0xbee1c552, v3
	;; [unrolled: 1-line block ×4, first 2 shown]
	v_add_f32_e32 v23, v23, v21
	v_add_f32_e32 v4, v4, v11
	v_fmac_f32_e32 v7, 0xbee1c552, v2
	v_fmac_f32_e32 v18, 0xbee1c552, v3
	v_add_f32_e32 v76, v27, v0
	v_sub_f32_e32 v24, v1, v26
	v_sub_f32_e32 v55, v31, v6
	v_add_f32_e32 v22, v5, v25
	v_add_f32_e32 v51, v6, v31
	v_sub_f32_e32 v21, v25, v5
	v_sub_f32_e32 v56, v0, v27
	v_add_f32_e32 v0, v26, v1
	v_add_f32_e32 v1, v34, v49
	;; [unrolled: 1-line block ×6, first 2 shown]
	v_sub_f32_e32 v20, v4, v7
	v_sub_f32_e32 v54, v23, v18
	v_add_f32_e32 v23, v7, v4
	v_sub_f32_e32 v3, v34, v49
	v_sub_f32_e32 v4, v38, v60
	;; [unrolled: 1-line block ×4, first 2 shown]
	v_add_f32_e32 v18, v37, v43
	v_add_f32_e32 v25, v42, v35
	v_sub_f32_e32 v26, v43, v37
	v_sub_f32_e32 v27, v35, v42
	v_add_f32_e32 v31, v5, v1
	v_add_f32_e32 v34, v6, v2
	v_sub_f32_e32 v35, v5, v1
	v_sub_f32_e32 v36, v6, v2
	;; [unrolled: 1-line block ×6, first 2 shown]
	v_add_f32_e32 v1, v26, v7
	v_add_f32_e32 v38, v27, v11
	v_sub_f32_e32 v39, v26, v7
	v_sub_f32_e32 v42, v27, v11
	;; [unrolled: 1-line block ×4, first 2 shown]
	v_add_f32_e32 v18, v18, v31
	v_add_f32_e32 v25, v25, v34
	v_sub_f32_e32 v43, v3, v26
	v_sub_f32_e32 v27, v4, v27
	v_add_f32_e32 v3, v1, v3
	v_add_f32_e32 v4, v38, v4
	;; [unrolled: 1-line block ×4, first 2 shown]
	v_mul_f32_e32 v31, 0x3f4a47b2, v37
	v_mul_f32_e32 v2, 0x3f4a47b2, v2
	;; [unrolled: 1-line block ×8, first 2 shown]
	v_fmamk_f32 v18, v18, 0xbf955555, v26
	v_fmamk_f32 v25, v25, 0xbf955555, v1
	v_fma_f32 v34, v35, s12, -v34
	v_fma_f32 v37, v36, s12, -v37
	;; [unrolled: 1-line block ×3, first 2 shown]
	v_fmac_f32_e32 v31, 0x3d64c772, v5
	v_fma_f32 v5, v36, s3, -v2
	v_fmac_f32_e32 v2, 0x3d64c772, v6
	v_fma_f32 v6, v7, s2, -v38
	v_fma_f32 v7, v11, s2, -v39
	v_fmac_f32_e32 v39, 0xbeae86e6, v27
	v_fma_f32 v11, v43, s1, -v42
	v_fma_f32 v27, v27, s1, -v45
	v_fmac_f32_e32 v38, 0xbeae86e6, v43
	v_add_f32_e32 v31, v31, v18
	v_add_f32_e32 v36, v2, v25
	;; [unrolled: 1-line block ×6, first 2 shown]
	v_fmac_f32_e32 v39, 0xbee1c552, v4
	v_fmac_f32_e32 v6, 0xbee1c552, v3
	v_fmac_f32_e32 v7, 0xbee1c552, v4
	v_fmac_f32_e32 v11, 0xbee1c552, v3
	v_fmac_f32_e32 v27, 0xbee1c552, v4
	v_fmac_f32_e32 v38, 0xbee1c552, v3
	v_add_f32_e32 v68, v39, v31
	v_add_f32_e32 v46, v27, v18
	v_sub_f32_e32 v3, v25, v11
	v_sub_f32_e32 v50, v34, v7
	v_add_f32_e32 v4, v6, v37
	v_add_f32_e32 v45, v7, v34
	v_sub_f32_e32 v5, v37, v6
	v_sub_f32_e32 v47, v18, v27
	v_add_f32_e32 v6, v11, v25
	v_sub_f32_e32 v48, v31, v39
	v_add_f32_e32 v11, v134, v143
	v_add_f32_e32 v18, v137, v144
	;; [unrolled: 1-line block ×4, first 2 shown]
	v_sub_f32_e32 v2, v36, v38
	v_add_f32_e32 v7, v38, v36
	v_sub_f32_e32 v25, v134, v143
	v_sub_f32_e32 v27, v137, v144
	;; [unrolled: 1-line block ×4, first 2 shown]
	v_add_f32_e32 v37, v136, v140
	v_add_f32_e32 v38, v139, v28
	v_sub_f32_e32 v39, v140, v136
	v_sub_f32_e32 v28, v28, v139
	v_add_f32_e32 v42, v31, v11
	v_add_f32_e32 v43, v34, v18
	v_sub_f32_e32 v49, v31, v11
	v_sub_f32_e32 v52, v34, v18
	;; [unrolled: 1-line block ×6, first 2 shown]
	v_add_f32_e32 v11, v39, v35
	v_add_f32_e32 v18, v28, v36
	v_sub_f32_e32 v73, v39, v35
	v_sub_f32_e32 v80, v28, v36
	;; [unrolled: 1-line block ×4, first 2 shown]
	v_add_f32_e32 v37, v37, v42
	v_add_f32_e32 v38, v38, v43
	v_sub_f32_e32 v39, v25, v39
	v_sub_f32_e32 v28, v27, v28
	v_add_f32_e32 v25, v11, v25
	v_add_f32_e32 v27, v18, v27
	;; [unrolled: 1-line block ×4, first 2 shown]
	v_mul_f32_e32 v42, 0x3f4a47b2, v57
	v_mul_f32_e32 v43, 0x3f4a47b2, v60
	v_mul_f32_e32 v57, 0x3d64c772, v31
	v_mul_f32_e32 v60, 0x3d64c772, v34
	v_mul_f32_e32 v73, 0x3f08b237, v73
	v_mul_f32_e32 v80, 0x3f08b237, v80
	v_mul_f32_e32 v81, 0xbf5ff5aa, v35
	v_mul_f32_e32 v84, 0xbf5ff5aa, v36
	v_fmamk_f32 v37, v37, 0xbf955555, v18
	v_fmamk_f32 v38, v38, 0xbf955555, v11
	v_fma_f32 v57, v49, s12, -v57
	v_fma_f32 v60, v52, s12, -v60
	;; [unrolled: 1-line block ×3, first 2 shown]
	v_fmac_f32_e32 v42, 0x3d64c772, v31
	v_fma_f32 v31, v52, s3, -v43
	v_fmac_f32_e32 v43, 0x3d64c772, v34
	v_fma_f32 v52, v35, s2, -v73
	;; [unrolled: 2-line block ×4, first 2 shown]
	v_fma_f32 v28, v28, s1, -v84
	v_add_f32_e32 v81, v42, v37
	v_add_f32_e32 v84, v43, v38
	;; [unrolled: 1-line block ×5, first 2 shown]
	v_fmac_f32_e32 v73, 0xbee1c552, v25
	v_fmac_f32_e32 v80, 0xbee1c552, v27
	;; [unrolled: 1-line block ×5, first 2 shown]
	v_add_f32_e32 v57, v60, v38
	v_fmac_f32_e32 v52, 0xbee1c552, v25
	v_add_f32_e32 v60, v80, v81
	v_sub_f32_e32 v25, v84, v73
	v_add_f32_e32 v36, v28, v37
	v_sub_f32_e32 v27, v31, v39
	v_sub_f32_e32 v42, v43, v34
	v_add_f32_e32 v34, v34, v43
	v_sub_f32_e32 v37, v37, v28
	v_add_f32_e32 v39, v39, v31
	;; [unrolled: 2-line block ×3, first 2 shown]
	v_add_f32_e32 v28, v145, v151
	v_add_f32_e32 v31, v146, v152
	;; [unrolled: 1-line block ×5, first 2 shown]
	v_sub_f32_e32 v38, v57, v52
	v_sub_f32_e32 v52, v145, v151
	v_sub_f32_e32 v57, v146, v152
	v_sub_f32_e32 v29, v30, v29
	v_sub_f32_e32 v30, v147, v150
	v_add_f32_e32 v81, v148, v149
	v_add_f32_e32 v84, v14, v17
	v_sub_f32_e32 v85, v149, v148
	v_sub_f32_e32 v14, v17, v14
	v_add_f32_e32 v17, v73, v28
	v_add_f32_e32 v86, v80, v31
	v_sub_f32_e32 v114, v73, v28
	v_sub_f32_e32 v116, v80, v31
	;; [unrolled: 1-line block ×6, first 2 shown]
	v_add_f32_e32 v117, v85, v29
	v_add_f32_e32 v120, v14, v30
	v_sub_f32_e32 v122, v85, v29
	v_sub_f32_e32 v123, v14, v30
	;; [unrolled: 1-line block ×4, first 2 shown]
	v_add_f32_e32 v81, v81, v17
	v_add_f32_e32 v84, v84, v86
	v_sub_f32_e32 v85, v52, v85
	v_sub_f32_e32 v14, v57, v14
	v_add_f32_e32 v52, v117, v52
	v_add_f32_e32 v86, v120, v57
	;; [unrolled: 1-line block ×4, first 2 shown]
	v_mul_f32_e32 v28, 0x3f4a47b2, v28
	v_mul_f32_e32 v31, 0x3f4a47b2, v31
	;; [unrolled: 1-line block ×8, first 2 shown]
	v_fmamk_f32 v81, v81, 0xbf955555, v17
	v_fmamk_f32 v84, v84, 0xbf955555, v57
	v_fma_f32 v82, v114, s12, -v82
	v_fma_f32 v113, v116, s12, -v113
	;; [unrolled: 1-line block ×3, first 2 shown]
	v_fmac_f32_e32 v28, 0x3d64c772, v73
	v_fma_f32 v73, v116, s3, -v31
	v_fmac_f32_e32 v31, 0x3d64c772, v80
	v_fma_f32 v116, v29, s2, -v117
	;; [unrolled: 2-line block ×4, first 2 shown]
	v_fma_f32 v14, v14, s1, -v123
	v_add_f32_e32 v122, v28, v81
	v_add_f32_e32 v123, v31, v84
	;; [unrolled: 1-line block ×6, first 2 shown]
	v_fmac_f32_e32 v117, 0xbee1c552, v52
	v_fmac_f32_e32 v120, 0xbee1c552, v86
	;; [unrolled: 1-line block ×6, first 2 shown]
	ds_write2_b32 v172, v16, v118 offset1:49
	ds_write2_b32 v172, v71, v75 offset0:98 offset1:147
	ds_write2_b32 v172, v70, v74 offset0:196 offset1:245
	;; [unrolled: 1-line block ×4, first 2 shown]
	v_lshl_add_u32 v118, v15, 2, 0
	v_add_f32_e32 v52, v120, v122
	v_sub_f32_e32 v73, v123, v117
	v_add_f32_e32 v29, v14, v113
	v_sub_f32_e32 v80, v84, v85
	v_sub_f32_e32 v31, v28, v30
	v_add_f32_e32 v81, v116, v82
	v_add_f32_e32 v28, v30, v28
	v_sub_f32_e32 v82, v82, v116
	v_sub_f32_e32 v30, v113, v14
	v_add_f32_e32 v84, v85, v84
	v_sub_f32_e32 v14, v122, v120
	v_add_f32_e32 v85, v117, v123
	v_add_u32_e32 v124, 0x600, v172
	v_add_u32_e32 v123, 0x800, v118
	;; [unrolled: 1-line block ×9, first 2 shown]
	ds_write2_b32 v124, v66, v69 offset0:106 offset1:155
	ds_write2_b32 v167, v64, v67 offset0:76 offset1:125
	;; [unrolled: 1-line block ×5, first 2 shown]
	ds_write_b32 v118, v63 offset:3920
	ds_write2_b32 v114, v33, v76 offset0:5 offset1:54
	ds_write2_b32 v114, v53, v55 offset0:103 offset1:152
	ds_write2_b32 v114, v51, v54 offset0:201 offset1:250
	ds_write_b32 v13, v56 offset:5292
	ds_write2_b32 v86, v26, v68 offset0:92 offset1:141
	ds_write2_b32 v86, v46, v50 offset0:190 offset1:239
	ds_write2_b32 v113, v45, v47 offset0:32 offset1:81
	;; [unrolled: 4-line block ×4, first 2 shown]
	ds_write_b32 v10, v14 offset:9408
	s_waitcnt lgkmcnt(0)
	; wave barrier
	s_waitcnt lgkmcnt(0)
	ds_read_b32 v18, v172
	ds_read2_b32 v[36:37], v161 offset0:87 offset1:136
	ds_read2_b32 v[42:43], v167 offset0:125 offset1:174
	;; [unrolled: 1-line block ×6, first 2 shown]
	ds_read_b32 v34, v178
	ds_read2_b32 v[30:31], v171 offset0:95 offset1:144
	ds_read2_b32 v[28:29], v170 offset0:141 offset1:190
	ds_read2_b32 v[32:33], v157 offset0:59 offset1:108
	ds_read_b32 v26, v177
	ds_read2_b32 v[74:75], v161 offset0:185 offset1:234
	ds_read2_b32 v[76:77], v162 offset0:103 offset1:152
	ds_read2_b32 v[78:79], v166 offset0:21 offset1:70
	;; [unrolled: 4-line block ×5, first 2 shown]
	ds_read_b32 v48, v87
	s_waitcnt lgkmcnt(0)
	; wave barrier
	s_waitcnt lgkmcnt(0)
	ds_write2_b32 v172, v65, v100 offset1:49
	ds_write2_b32 v172, v102, v103 offset0:98 offset1:147
	ds_write2_b32 v172, v104, v105 offset0:196 offset1:245
	;; [unrolled: 1-line block ×9, first 2 shown]
	ds_write_b32 v118, v96 offset:3920
	ds_write2_b32 v114, v8, v24 offset0:5 offset1:54
	ds_write2_b32 v114, v20, v22 offset0:103 offset1:152
	ds_write2_b32 v114, v21, v23 offset0:201 offset1:250
	ds_write_b32 v13, v0 offset:5292
	ds_write2_b32 v86, v1, v2 offset0:92 offset1:141
	ds_write2_b32 v86, v3, v4 offset0:190 offset1:239
	ds_write2_b32 v113, v5, v6 offset0:32 offset1:81
	;; [unrolled: 4-line block ×4, first 2 shown]
	ds_write_b32 v10, v85 offset:9408
	s_waitcnt lgkmcnt(0)
	; wave barrier
	s_waitcnt lgkmcnt(0)
	s_and_saveexec_b64 s[16:17], vcc
	s_cbranch_execz .LBB0_15
; %bb.14:
	v_mov_b32_e32 v13, 0
	v_lshl_add_u64 v[8:9], s[4:5], 0, v[12:13]
	global_load_dwordx4 v[22:25], v[8:9], off offset:2688
	global_load_dwordx4 v[102:105], v[8:9], off offset:2704
	v_mul_i32_i24_e32 v12, 6, v163
	v_lshl_add_u64 v[10:11], v[12:13], 3, s[4:5]
	global_load_dwordx4 v[0:3], v[10:11], off offset:2688
	global_load_dwordx4 v[4:7], v[10:11], off offset:2720
	;; [unrolled: 1-line block ×3, first 2 shown]
	v_add_u32_e32 v19, 0x157, v159
	v_mad_u64_u32 v[98:99], s[16:17], s8, v159, 0
	v_mad_u64_u32 v[126:127], s[16:17], s8, v19, 0
	ds_read2_b32 v[80:81], v167 offset0:125 offset1:174
	ds_read2_b32 v[86:87], v83 offset0:127 offset1:176
	;; [unrolled: 1-line block ×9, first 2 shown]
	v_mov_b32_e32 v113, v14
	v_mov_b32_e32 v124, v14
	;; [unrolled: 1-line block ×3, first 2 shown]
	v_mul_i32_i24_e32 v12, 6, v101
	v_mov_b32_e32 v14, v127
	v_mul_i32_i24_e32 v65, 0xffffffe8, v119
	v_mul_i32_i24_e32 v57, 0xffffffe8, v101
	v_mov_b32_e32 v122, v43
	v_mov_b32_e32 v123, v45
	v_mad_u64_u32 v[116:117], s[16:17], s9, v159, v[8:9]
	v_lshl_add_u64 v[100:101], v[12:13], 3, s[4:5]
	v_mul_i32_i24_e32 v12, 6, v119
	v_mad_u64_u32 v[118:119], s[16:17], s9, v19, v[14:15]
	v_mul_i32_i24_e32 v73, 0xffffffe8, v115
	v_mov_b32_e32 v99, v116
	v_lshl_add_u64 v[116:117], v[12:13], 3, s[4:5]
	v_mul_i32_i24_e32 v12, 6, v115
	s_waitcnt lgkmcnt(8)
	v_mov_b32_e32 v14, v81
	v_mov_b32_e32 v114, v81
	s_waitcnt lgkmcnt(5)
	v_mov_b32_e32 v115, v85
	v_mov_b32_e32 v112, v16
	;; [unrolled: 1-line block ×4, first 2 shown]
	v_lshl_add_u64 v[118:119], v[12:13], 3, s[4:5]
	v_mul_i32_i24_e32 v12, 6, v107
	v_mul_i32_i24_e32 v27, 0xffffffe8, v107
	s_waitcnt lgkmcnt(1)
	v_mov_b32_e32 v128, v20
	v_mov_b32_e32 v129, v91
	v_lshl_add_u64 v[106:107], v[12:13], 3, s[4:5]
	v_mul_i32_i24_e32 v12, 6, v165
	v_lshl_add_u64 v[12:13], v[12:13], 3, s[4:5]
	global_load_dwordx4 v[8:11], v[10:11], off offset:2704
	s_mov_b32 s11, s14
	s_mov_b32 s16, s7
	;; [unrolled: 1-line block ×3, first 2 shown]
	v_mul_i32_i24_e32 v49, 0xffffffe8, v163
	v_mul_i32_i24_e32 v35, 0xffffffe8, v165
	v_add_u32_e32 v35, v169, v35
	v_add_u32_e32 v27, v164, v27
	s_waitcnt vmcnt(5)
	v_mul_f32_e32 v19, v43, v25
	v_mov_b32_e32 v96, v25
	v_mov_b32_e32 v132, v25
	s_waitcnt vmcnt(4)
	v_mov_b32_e32 v25, v105
	v_mov_b32_e32 v133, v104
	v_pk_mul_f32 v[122:123], v[122:123], v[24:25]
	v_mov_b32_e32 v134, v103
	v_pk_fma_f32 v[136:137], v[96:97], v[14:15], v[122:123]
	s_waitcnt vmcnt(1)
	v_mul_f32_e32 v16, v16, v109
	v_pk_fma_f32 v[114:115], v[132:133], v[114:115], v[122:123] neg_lo:[0,0,1] neg_hi:[0,0,1]
	v_mov_b32_e32 v14, v109
	v_mov_b32_e32 v122, v109
	;; [unrolled: 1-line block ×5, first 2 shown]
	v_fma_f32 v114, v24, v81, -v19
	v_pk_mul_f32 v[24:25], v[124:125], v[102:103]
	v_add_u32_e32 v19, 0x2ae, v159
	v_mul_f32_e32 v139, v111, v91
	v_pk_fma_f32 v[124:125], v[134:135], v[128:129], v[24:25]
	v_pk_fma_f32 v[24:25], v[134:135], v[128:129], v[24:25] neg_lo:[0,0,1] neg_hi:[0,0,1]
	v_mad_u64_u32 v[128:129], s[4:5], s8, v19, 0
	v_mul_f32_e32 v131, v23, v38
	v_fmac_f32_e32 v139, v47, v110
	v_pk_mul_f32 v[110:111], v[112:113], v[108:109]
	s_waitcnt lgkmcnt(0)
	v_fma_f32 v108, v108, v94, -v16
	v_mov_b32_e32 v16, v129
	v_fmac_f32_e32 v131, v36, v22
	v_mov_b32_e32 v112, v105
	v_mov_b32_e32 v113, v22
	;; [unrolled: 1-line block ×3, first 2 shown]
	v_mad_u64_u32 v[22:23], s[4:5], s9, v19, v[16:17]
	v_mov_b32_e32 v125, v25
	v_mov_b32_e32 v24, v45
	;; [unrolled: 1-line block ×7, first 2 shown]
	v_pk_mul_f32 v[24:25], v[24:25], v[104:105]
	v_mov_b32_e32 v104, v85
	v_mov_b32_e32 v105, v38
	v_pk_fma_f32 v[22:23], v[122:123], v[22:23], v[110:111] neg_lo:[0,0,1] neg_hi:[0,0,1]
	v_pk_fma_f32 v[102:103], v[14:15], v[94:95], v[110:111]
	v_pk_fma_f32 v[140:141], v[112:113], v[104:105], v[24:25]
	v_pk_fma_f32 v[24:25], v[112:113], v[104:105], v[24:25] neg_lo:[0,0,1] neg_hi:[0,0,1]
	v_mov_b32_e32 v103, v23
	v_mov_b32_e32 v137, v115
	;; [unrolled: 1-line block ×3, first 2 shown]
	v_pk_add_f32 v[134:135], v[136:137], v[102:103] neg_lo:[0,1] neg_hi:[0,1]
	v_pk_add_f32 v[24:25], v[140:141], v[124:125]
	v_pk_add_f32 v[102:103], v[136:137], v[102:103]
	v_add_f32_e32 v133, v114, v108
	v_add_f32_e32 v122, v131, v139
	v_mov_b32_e32 v123, v103
	v_mov_b32_e32 v132, v24
	v_pk_add_f32 v[136:137], v[122:123], v[132:133] neg_lo:[0,1] neg_hi:[0,1]
	v_mov_b32_e32 v123, v25
	v_mov_b32_e32 v132, v102
	v_pk_add_f32 v[142:143], v[24:25], v[102:103] neg_lo:[0,1] neg_hi:[0,1]
	v_pk_add_f32 v[104:105], v[122:123], v[132:133]
	v_mov_b32_e32 v25, v103
	v_pk_add_f32 v[144:145], v[24:25], v[104:105]
	v_mov_b32_e32 v138, v23
	global_load_dwordx4 v[22:25], v[12:13], off offset:2704
	global_load_dwordx4 v[102:105], v[12:13], off offset:2688
	;; [unrolled: 1-line block ×3, first 2 shown]
	ds_read_b32 v19, v172
	v_mov_b32_e32 v130, v115
	v_mov_b32_e32 v115, v140
	;; [unrolled: 1-line block ×3, first 2 shown]
	v_pk_add_f32 v[130:131], v[130:131], v[138:139] neg_lo:[0,1] neg_hi:[0,1]
	v_lshl_add_u64 v[12:13], v[98:99], 3, v[40:41]
	v_lshl_add_u64 v[98:99], v[126:127], 3, v[40:41]
	;; [unrolled: 1-line block ×3, first 2 shown]
	v_pk_mul_f32 v[128:129], v[136:137], s[10:11]
	v_pk_add_f32 v[136:137], v[140:141], v[124:125] neg_lo:[0,1] neg_hi:[0,1]
	v_pk_add_f32 v[108:109], v[114:115], v[108:109] neg_lo:[0,1] neg_hi:[0,1]
	s_mov_b32 s4, s14
	v_mov_b32_e32 v114, v137
	v_mov_b32_e32 v115, v109
	;; [unrolled: 1-line block ×4, first 2 shown]
	s_waitcnt lgkmcnt(0)
	v_pk_add_f32 v[18:19], v[18:19], v[144:145]
	s_mov_b32 s14, s15
	v_pk_add_f32 v[114:115], v[114:115], v[124:125] neg_lo:[0,1] neg_hi:[0,1]
	v_pk_fma_f32 v[138:139], v[144:145], s[14:15], v[18:19] op_sel_hi:[1,0,1] neg_lo:[1,0,0] neg_hi:[1,0,0]
	global_store_dwordx2 v[12:13], v[18:19], off
	v_pk_add_f32 v[12:13], v[130:131], v[108:109] neg_lo:[0,1] neg_hi:[0,1]
	v_mov_b32_e32 v19, v109
	v_mov_b32_e32 v109, v134
	;; [unrolled: 1-line block ×3, first 2 shown]
	s_mov_b32 s5, s10
	v_pk_mul_f32 v[114:115], v[114:115], s[6:7]
	v_pk_add_f32 v[18:19], v[18:19], v[108:109]
	v_mov_b32_e32 v130, v137
	v_pk_fma_f32 v[124:125], v[142:143], s[4:5], v[128:129]
	v_pk_fma_f32 v[134:135], v[12:13], s[16:17], v[114:115]
	v_pk_add_f32 v[18:19], v[130:131], v[18:19]
	v_pk_add_f32 v[124:125], v[124:125], v[138:139]
	v_pk_fma_f32 v[134:135], v[18:19], s[0:1], v[134:135] op_sel_hi:[1,0,1]
	v_add_u32_e32 v16, 0x405, v159
	v_pk_add_f32 v[136:137], v[124:125], v[134:135] neg_lo:[0,1] neg_hi:[0,1]
	v_pk_add_f32 v[124:125], v[124:125], v[134:135]
	v_mov_b32_e32 v135, v137
	v_mov_b32_e32 v134, v124
	global_store_dwordx2 v[98:99], v[134:135], off
	v_mad_u64_u32 v[134:135], s[18:19], s8, v16, 0
	v_mov_b32_e32 v14, v135
	v_mad_u64_u32 v[98:99], s[18:19], s9, v16, v[14:15]
	v_pk_mul_f32 v[140:141], v[142:143], s[4:5]
	v_pk_mul_f32 v[12:13], v[12:13], s[16:17]
	v_mov_b32_e32 v135, v98
	v_mov_b32_e32 v98, v128
	;; [unrolled: 1-line block ×3, first 2 shown]
	v_pk_add_f32 v[122:123], v[132:133], v[122:123] neg_lo:[0,1] neg_hi:[0,1]
	v_pk_add_f32 v[108:109], v[108:109], v[130:131] neg_lo:[0,1] neg_hi:[0,1]
	v_mov_b32_e32 v130, v114
	v_mov_b32_e32 v131, v13
	v_pk_fma_f32 v[98:99], v[122:123], s[12:13], v[98:99] op_sel_hi:[1,0,1] neg_lo:[1,0,1] neg_hi:[1,0,1]
	v_pk_fma_f32 v[130:131], v[108:109], s[2:3], v[130:131] op_sel_hi:[1,0,1] neg_lo:[1,0,1] neg_hi:[1,0,1]
	v_pk_add_f32 v[98:99], v[98:99], v[138:139]
	v_pk_fma_f32 v[130:131], v[18:19], s[0:1], v[130:131] op_sel_hi:[1,0,1]
	v_mul_f32_e32 v13, v46, v5
	v_pk_add_f32 v[132:133], v[98:99], v[130:131] neg_lo:[0,1] neg_hi:[0,1]
	v_pk_add_f32 v[98:99], v[98:99], v[130:131]
	v_add_u32_e32 v16, 0x55c, v159
	v_mov_b32_e32 v130, v98
	v_mov_b32_e32 v131, v133
	v_fma_f32 v96, v4, v90, -v13
	v_mul_f32_e32 v13, v55, v3
	global_store_dwordx2 v[126:127], v[130:131], off
	v_mad_u64_u32 v[126:127], s[18:19], s8, v16, 0
	v_fma_f32 v98, v2, v89, -v13
	v_mov_b32_e32 v13, v115
	v_mov_b32_e32 v141, v129
	;; [unrolled: 1-line block ×3, first 2 shown]
	v_pk_fma_f32 v[12:13], v[108:109], s[2:3], v[12:13] op_sel_hi:[1,0,1] neg_lo:[0,0,1] neg_hi:[0,0,1]
	v_pk_fma_f32 v[122:123], v[122:123], s[12:13], v[140:141] op_sel_hi:[1,0,1] neg_lo:[0,0,1] neg_hi:[0,0,1]
	v_mad_u64_u32 v[130:131], s[18:19], s9, v16, v[14:15]
	v_pk_fma_f32 v[12:13], v[18:19], s[0:1], v[12:13] op_sel_hi:[1,0,1]
	v_pk_add_f32 v[122:123], v[122:123], v[138:139]
	v_mov_b32_e32 v127, v130
	v_add_u32_e32 v14, v168, v49
	v_pk_add_f32 v[130:131], v[122:123], v[12:13]
	v_pk_add_f32 v[12:13], v[122:123], v[12:13] neg_lo:[0,1] neg_hi:[0,1]
	ds_read_b32 v49, v14
	ds_read2_b32 v[114:115], v157 offset0:59 offset1:108
	ds_read2_b32 v[108:109], v171 offset0:95 offset1:144
	v_lshl_add_u64 v[18:19], v[134:135], 3, v[40:41]
	v_add_u32_e32 v14, 0x6b3, v159
	v_mov_b32_e32 v122, v12
	v_mov_b32_e32 v123, v131
	global_store_dwordx2 v[18:19], v[122:123], off
	v_mad_u64_u32 v[18:19], s[18:19], s8, v14, 0
	v_mov_b32_e32 v12, v19
	v_mad_u64_u32 v[122:123], s[18:19], s9, v14, v[12:13]
	s_waitcnt vmcnt(4)
	v_mul_f32_e32 v12, v17, v111
	v_fma_f32 v120, v110, v95, -v12
	v_mul_f32_e32 v12, v30, v105
	v_mov_b32_e32 v131, v13
	s_waitcnt lgkmcnt(0)
	v_fma_f32 v124, v104, v108, -v12
	v_lshl_add_u64 v[12:13], v[126:127], 3, v[40:41]
	v_add_u32_e32 v16, 0x80a, v159
	global_store_dwordx2 v[12:13], v[130:131], off
	v_mad_u64_u32 v[12:13], s[18:19], s8, v16, 0
	v_mov_b32_e32 v14, v13
	v_mov_b32_e32 v19, v122
	v_mad_u64_u32 v[122:123], s[18:19], s9, v16, v[14:15]
	v_mov_b32_e32 v13, v122
	v_lshl_add_u64 v[18:19], v[18:19], 3, v[40:41]
	v_lshl_add_u64 v[12:13], v[12:13], 3, v[40:41]
	v_mov_b32_e32 v133, v99
	v_mov_b32_e32 v137, v125
	v_mad_u64_u32 v[126:127], s[18:19], s8, v121, 0
	global_store_dwordx2 v[18:19], v[132:133], off
	global_store_dwordx2 v[12:13], v[136:137], off
	v_mov_b32_e32 v12, v127
	v_mad_u64_u32 v[12:13], s[18:19], s9, v121, v[12:13]
	v_add_u32_e32 v13, 0x188, v159
	v_mad_u64_u32 v[130:131], s[18:19], s8, v13, 0
	v_mov_b32_e32 v127, v12
	v_mov_b32_e32 v12, v131
	v_mad_u64_u32 v[12:13], s[18:19], s9, v13, v[12:13]
	v_add_u32_e32 v13, 0x2df, v159
	v_mad_u64_u32 v[132:133], s[18:19], s8, v13, 0
	v_mov_b32_e32 v131, v12
	v_mov_b32_e32 v12, v133
	v_mad_u64_u32 v[122:123], s[18:19], s9, v13, v[12:13]
	v_mov_b32_e32 v12, v111
	v_mov_b32_e32 v18, v111
	;; [unrolled: 1-line block ×7, first 2 shown]
	v_pk_mul_f32 v[110:111], v[14:15], v[110:111]
	v_mov_b32_e32 v138, v105
	v_pk_fma_f32 v[136:137], v[12:13], v[16:17], v[110:111]
	v_pk_fma_f32 v[110:111], v[18:19], v[20:21], v[110:111] neg_lo:[0,0,1] neg_hi:[0,0,1]
	v_mov_b32_e32 v12, v30
	v_mov_b32_e32 v110, v105
	v_mov_b32_e32 v13, v28
	v_mov_b32_e32 v105, v25
	v_pk_mul_f32 v[104:105], v[12:13], v[104:105]
	v_mov_b32_e32 v12, v23
	v_mov_b32_e32 v14, v15
	v_mov_b32_e32 v15, v32
	v_mov_b32_e32 v23, v113
	v_mul_f32_e32 v135, v113, v114
	v_mov_b32_e32 v13, v112
	v_mov_b32_e32 v16, v21
	;; [unrolled: 1-line block ×3, first 2 shown]
	v_pk_mul_f32 v[14:15], v[14:15], v[22:23]
	v_fmac_f32_e32 v135, v32, v112
	v_pk_fma_f32 v[112:113], v[12:13], v[16:17], v[14:15]
	v_pk_fma_f32 v[140:141], v[12:13], v[16:17], v[14:15] neg_lo:[0,0,1] neg_hi:[0,0,1]
	global_load_dwordx4 v[12:15], v[100:101], off offset:2704
	global_load_dwordx4 v[16:19], v[100:101], off offset:2688
	v_mov_b32_e32 v133, v122
	global_load_dwordx4 v[20:23], v[100:101], off offset:2720
	ds_read_b32 v35, v35
	ds_read2_b32 v[122:123], v170 offset0:141 offset1:190
	v_mov_b32_e32 v142, v25
	v_mov_b32_e32 v25, v103
	;; [unrolled: 1-line block ×5, first 2 shown]
	v_pk_mul_f32 v[24:25], v[36:37], v[24:25]
	v_add_u32_e32 v28, 0x436, v159
	s_waitcnt lgkmcnt(0)
	v_mov_b32_e32 v38, v122
	v_pk_fma_f32 v[100:101], v[142:143], v[38:39], v[24:25]
	v_pk_fma_f32 v[24:25], v[142:143], v[38:39], v[24:25] neg_lo:[0,0,1] neg_hi:[0,0,1]
	v_mad_u64_u32 v[142:143], s[18:19], s8, v28, 0
	v_mul_f32_e32 v129, v103, v39
	v_mov_b32_e32 v24, v143
	v_fmac_f32_e32 v129, v37, v102
	v_mad_u64_u32 v[36:37], s[18:19], s9, v28, v[24:25]
	v_mov_b32_e32 v143, v36
	v_mov_b32_e32 v36, v108
	v_mov_b32_e32 v37, v122
	v_pk_fma_f32 v[36:37], v[138:139], v[36:37], v[104:105] neg_lo:[0,0,1] neg_hi:[0,0,1]
	v_pk_fma_f32 v[38:39], v[110:111], v[108:109], v[104:105]
	v_mov_b32_e32 v137, v111
	v_mov_b32_e32 v39, v37
	;; [unrolled: 1-line block ×4, first 2 shown]
	v_pk_add_f32 v[102:103], v[38:39], v[136:137] neg_lo:[0,1] neg_hi:[0,1]
	v_pk_add_f32 v[104:105], v[100:101], v[112:113]
	v_pk_add_f32 v[38:39], v[38:39], v[136:137]
	v_add_f32_e32 v145, v124, v120
	v_add_f32_e32 v24, v129, v135
	v_mov_b32_e32 v25, v39
	v_mov_b32_e32 v144, v104
	v_pk_add_f32 v[136:137], v[24:25], v[144:145] neg_lo:[0,1] neg_hi:[0,1]
	v_mov_b32_e32 v25, v105
	v_mov_b32_e32 v144, v38
	v_pk_add_f32 v[138:139], v[104:105], v[38:39] neg_lo:[0,1] neg_hi:[0,1]
	v_mov_b32_e32 v105, v39
	v_pk_add_f32 v[38:39], v[24:25], v[144:145]
	v_mov_b32_e32 v128, v37
	v_pk_add_f32 v[104:105], v[104:105], v[38:39]
	global_load_dwordx4 v[36:39], v[106:107], off offset:2720
	v_pk_mul_f32 v[136:137], v[136:137], s[10:11]
	v_pk_add_f32 v[34:35], v[34:35], v[104:105]
	v_mov_b32_e32 v134, v111
	v_pk_fma_f32 v[110:111], v[138:139], s[4:5], v[136:137]
	v_pk_fma_f32 v[140:141], v[104:105], s[14:15], v[34:35] op_sel_hi:[1,0,1] neg_lo:[1,0,0] neg_hi:[1,0,0]
	v_mov_b32_e32 v125, v100
	v_mov_b32_e32 v121, v112
	v_pk_add_f32 v[104:105], v[110:111], v[140:141]
	v_pk_add_f32 v[110:111], v[128:129], v[134:135] neg_lo:[0,1] neg_hi:[0,1]
	v_pk_add_f32 v[128:129], v[100:101], v[112:113] neg_lo:[0,1] neg_hi:[0,1]
	;; [unrolled: 1-line block ×3, first 2 shown]
	v_mov_b32_e32 v112, v129
	v_mov_b32_e32 v113, v101
	;; [unrolled: 1-line block ×4, first 2 shown]
	v_pk_add_f32 v[112:113], v[112:113], v[120:121] neg_lo:[0,1] neg_hi:[0,1]
	v_pk_add_f32 v[120:121], v[110:111], v[100:101] neg_lo:[0,1] neg_hi:[0,1]
	v_mov_b32_e32 v103, v101
	v_mov_b32_e32 v101, v102
	;; [unrolled: 1-line block ×3, first 2 shown]
	v_pk_mul_f32 v[112:113], v[112:113], s[6:7]
	v_pk_add_f32 v[102:103], v[102:103], v[100:101]
	v_mov_b32_e32 v110, v129
	v_pk_fma_f32 v[124:125], v[120:121], s[16:17], v[112:113]
	v_pk_add_f32 v[134:135], v[110:111], v[102:103]
	v_pk_mul_f32 v[120:121], v[120:121], s[16:17]
	v_pk_fma_f32 v[102:103], v[134:135], s[0:1], v[124:125] op_sel_hi:[1,0,1]
	v_lshl_add_u64 v[124:125], v[130:131], 3, v[40:41]
	global_load_dwordx4 v[128:131], v[106:107], off offset:2704
	v_pk_add_f32 v[110:111], v[100:101], v[110:111] neg_lo:[0,1] neg_hi:[0,1]
	v_mov_b32_e32 v100, v112
	v_mov_b32_e32 v101, v121
	;; [unrolled: 1-line block ×3, first 2 shown]
	v_pk_fma_f32 v[100:101], v[110:111], s[2:3], v[100:101] op_sel_hi:[1,0,1] neg_lo:[1,0,1] neg_hi:[1,0,1]
	v_pk_fma_f32 v[110:111], v[110:111], s[2:3], v[120:121] op_sel_hi:[1,0,1] neg_lo:[0,0,1] neg_hi:[0,0,1]
	v_pk_add_f32 v[146:147], v[104:105], v[102:103] neg_lo:[0,1] neg_hi:[0,1]
	v_pk_add_f32 v[148:149], v[104:105], v[102:103]
	v_lshl_add_u64 v[104:105], v[126:127], 3, v[40:41]
	v_lshl_add_u64 v[126:127], v[132:133], 3, v[40:41]
	v_pk_fma_f32 v[100:101], v[134:135], s[0:1], v[100:101] op_sel_hi:[1,0,1]
	v_pk_fma_f32 v[120:121], v[134:135], s[0:1], v[110:111] op_sel_hi:[1,0,1]
	global_load_dwordx4 v[132:135], v[106:107], off offset:2688
	v_pk_mul_f32 v[138:139], v[138:139], s[4:5]
	global_store_dwordx2 v[104:105], v[34:35], off
	v_mov_b32_e32 v34, v148
	v_mov_b32_e32 v35, v147
	global_store_dwordx2 v[124:125], v[34:35], off
	v_mov_b32_e32 v34, v136
	v_mov_b32_e32 v35, v139
	v_pk_add_f32 v[24:25], v[144:145], v[24:25] neg_lo:[0,1] neg_hi:[0,1]
	ds_read2_b32 v[112:113], v166 offset0:119 offset1:168
	v_pk_fma_f32 v[34:35], v[24:25], s[12:13], v[34:35] op_sel_hi:[1,0,1] neg_lo:[1,0,1] neg_hi:[1,0,1]
	v_add_u32_e32 v30, 0x58d, v159
	v_pk_add_f32 v[34:35], v[34:35], v[140:141]
	v_mov_b32_e32 v139, v137
	v_pk_add_f32 v[144:145], v[34:35], v[100:101] neg_lo:[0,1] neg_hi:[0,1]
	v_pk_add_f32 v[34:35], v[34:35], v[100:101]
	v_mov_b32_e32 v101, v145
	v_mov_b32_e32 v100, v34
	global_store_dwordx2 v[126:127], v[100:101], off
	v_mad_u64_u32 v[126:127], s[18:19], s8, v30, 0
	v_mov_b32_e32 v28, v127
	v_mad_u64_u32 v[100:101], s[18:19], s9, v30, v[28:29]
	s_waitcnt vmcnt(6)
	v_mul_f32_e32 v28, v63, v21
	v_pk_fma_f32 v[24:25], v[24:25], s[12:13], v[138:139] op_sel_hi:[1,0,1] neg_lo:[0,0,1] neg_hi:[0,0,1]
	s_waitcnt lgkmcnt(0)
	v_fma_f32 v106, v20, v113, -v28
	v_mul_f32_e32 v28, v54, v19
	v_fma_f32 v108, v18, v88, -v28
	v_add_u32_e32 v28, 0x6e4, v159
	v_pk_add_f32 v[24:25], v[24:25], v[140:141]
	v_mad_u64_u32 v[138:139], s[18:19], s8, v28, 0
	v_pk_add_f32 v[136:137], v[24:25], v[120:121]
	v_pk_add_f32 v[24:25], v[24:25], v[120:121] neg_lo:[0,1] neg_hi:[0,1]
	v_lshl_add_u64 v[124:125], v[142:143], 3, v[40:41]
	v_mov_b32_e32 v120, v24
	v_mov_b32_e32 v121, v137
	;; [unrolled: 1-line block ×4, first 2 shown]
	global_store_dwordx2 v[124:125], v[120:121], off
	v_mad_u64_u32 v[124:125], s[18:19], s9, v28, v[24:25]
	v_mov_b32_e32 v139, v124
	ds_read2_b32 v[124:125], v166 offset0:21 offset1:70
	v_mov_b32_e32 v137, v25
	v_lshl_add_u64 v[126:127], v[126:127], 3, v[40:41]
	v_add_u32_e32 v28, 0x83b, v159
	s_waitcnt vmcnt(6)
	v_mul_f32_e32 v25, v39, v115
	global_store_dwordx2 v[126:127], v[136:137], off
	v_mad_u64_u32 v[126:127], s[18:19], s8, v28, 0
	v_fmac_f32_e32 v25, v33, v38
	v_mov_b32_e32 v24, v127
	v_mad_u64_u32 v[136:137], s[18:19], s9, v28, v[24:25]
	v_add_u32_e32 v28, 0x62, v159
	v_add_u32_e32 v30, v156, v57
	v_mul_f32_e32 v24, v78, v37
	v_mov_b32_e32 v127, v136
	v_mov_b32_e32 v145, v35
	v_mad_u64_u32 v[34:35], s[18:19], s8, v28, 0
	ds_read_b32 v57, v30
	ds_read_b32 v27, v27
	s_waitcnt lgkmcnt(2)
	v_fma_f32 v30, v36, v124, -v24
	v_lshl_add_u64 v[136:137], v[138:139], 3, v[40:41]
	v_lshl_add_u64 v[126:127], v[126:127], 3, v[40:41]
	v_mov_b32_e32 v147, v149
	v_mov_b32_e32 v24, v35
	global_store_dwordx2 v[136:137], v[144:145], off
	global_store_dwordx2 v[126:127], v[146:147], off
	v_mad_u64_u32 v[126:127], s[18:19], s9, v28, v[24:25]
	v_add_u32_e32 v28, 0x1b9, v159
	v_mad_u64_u32 v[136:137], s[18:19], s8, v28, 0
	v_mov_b32_e32 v24, v137
	ds_read2_b32 v[120:121], v162 offset0:103 offset1:152
	v_mov_b32_e32 v35, v126
	v_mad_u64_u32 v[126:127], s[18:19], s9, v28, v[24:25]
	v_mov_b32_e32 v137, v126
	v_add_u32_e32 v32, 0x310, v159
	v_mov_b32_e32 v24, v37
	v_mov_b32_e32 v138, v37
	;; [unrolled: 1-line block ×4, first 2 shown]
	s_waitcnt vmcnt(8)
	v_mov_b32_e32 v37, v129
	v_pk_mul_f32 v[36:37], v[126:127], v[36:37]
	v_mad_u64_u32 v[142:143], s[18:19], s8, v32, 0
	ds_read2_b32 v[126:127], v161 offset0:185 offset1:234
	v_mov_b32_e32 v28, v143
	v_mov_b32_e32 v140, v129
	;; [unrolled: 1-line block ×4, first 2 shown]
	v_mad_u64_u32 v[38:39], s[18:19], s9, v32, v[28:29]
	v_mov_b32_e32 v143, v38
	v_mov_b32_e32 v139, v128
	;; [unrolled: 1-line block ×3, first 2 shown]
	s_waitcnt lgkmcnt(1)
	v_mov_b32_e32 v39, v120
	v_pk_fma_f32 v[138:139], v[138:139], v[38:39], v[36:37] neg_lo:[0,0,1] neg_hi:[0,0,1]
	s_waitcnt vmcnt(7)
	v_mul_f32_e32 v28, v31, v135
	s_waitcnt lgkmcnt(0)
	v_mul_f32_e32 v145, v133, v126
	v_fma_f32 v138, v134, v109, -v28
	v_pk_fma_f32 v[36:37], v[24:25], v[124:125], v[36:37]
	v_mov_b32_e32 v32, v76
	v_mov_b32_e32 v24, v135
	;; [unrolled: 1-line block ×5, first 2 shown]
	v_fmac_f32_e32 v145, v74, v132
	v_pk_mul_f32 v[32:33], v[32:33], v[128:129]
	v_mov_b32_e32 v128, v131
	v_mov_b32_e32 v129, v132
	;; [unrolled: 1-line block ×3, first 2 shown]
	v_pk_mul_f32 v[132:133], v[28:29], v[134:135]
	v_mov_b32_e32 v122, v109
	v_mov_b32_e32 v28, v109
	v_mov_b32_e32 v39, v130
	v_pk_fma_f32 v[134:135], v[24:25], v[28:29], v[132:133]
	v_pk_fma_f32 v[38:39], v[38:39], v[122:123], v[132:133] neg_lo:[0,0,1] neg_hi:[0,0,1]
	v_mov_b32_e32 v132, v29
	v_mov_b32_e32 v133, v74
	;; [unrolled: 1-line block ×5, first 2 shown]
	v_pk_mul_f32 v[130:131], v[132:133], v[130:131]
	v_pk_fma_f32 v[146:147], v[140:141], v[114:115], v[32:33]
	v_pk_fma_f32 v[32:33], v[140:141], v[114:115], v[32:33] neg_lo:[0,0,1] neg_hi:[0,0,1]
	v_pk_fma_f32 v[148:149], v[128:129], v[122:123], v[130:131]
	v_pk_fma_f32 v[122:123], v[128:129], v[122:123], v[130:131] neg_lo:[0,0,1] neg_hi:[0,0,1]
	v_mov_b32_e32 v37, v139
	v_mov_b32_e32 v135, v39
	v_mov_b32_e32 v147, v33
	v_mov_b32_e32 v149, v123
	v_pk_add_f32 v[32:33], v[134:135], v[36:37] neg_lo:[0,1] neg_hi:[0,1]
	v_pk_add_f32 v[122:123], v[148:149], v[146:147]
	v_pk_add_f32 v[36:37], v[134:135], v[36:37]
	v_add_f32_e32 v141, v138, v30
	v_add_f32_e32 v28, v145, v25
	v_mov_b32_e32 v29, v37
	v_mov_b32_e32 v140, v122
	v_pk_add_f32 v[150:151], v[28:29], v[140:141] neg_lo:[0,1] neg_hi:[0,1]
	v_mov_b32_e32 v29, v123
	v_mov_b32_e32 v140, v36
	v_pk_add_f32 v[152:153], v[122:123], v[36:37] neg_lo:[0,1] neg_hi:[0,1]
	v_pk_add_f32 v[128:129], v[28:29], v[140:141]
	v_mov_b32_e32 v123, v37
	ds_read2_b32 v[102:103], v167 offset0:27 offset1:76
	ds_read2_b32 v[110:111], v162 offset0:201 offset1:250
	v_pk_add_f32 v[122:123], v[122:123], v[128:129]
	v_mov_b32_e32 v144, v39
	global_load_dwordx4 v[36:39], v[118:119], off offset:2704
	global_load_dwordx4 v[128:131], v[118:119], off offset:2688
	;; [unrolled: 1-line block ×3, first 2 shown]
	v_mov_b32_e32 v24, v139
	v_mov_b32_e32 v139, v148
	;; [unrolled: 1-line block ×3, first 2 shown]
	v_pk_add_f32 v[24:25], v[144:145], v[24:25] neg_lo:[0,1] neg_hi:[0,1]
	v_pk_add_f32 v[144:145], v[148:149], v[146:147] neg_lo:[0,1] neg_hi:[0,1]
	;; [unrolled: 1-line block ×3, first 2 shown]
	v_lshl_add_u64 v[34:35], v[34:35], 3, v[40:41]
	v_mov_b32_e32 v138, v145
	v_mov_b32_e32 v139, v31
	;; [unrolled: 1-line block ×4, first 2 shown]
	v_pk_add_f32 v[26:27], v[26:27], v[122:123]
	v_pk_add_f32 v[138:139], v[138:139], v[146:147] neg_lo:[0,1] neg_hi:[0,1]
	v_pk_fma_f32 v[148:149], v[122:123], s[14:15], v[26:27] op_sel_hi:[1,0,1] neg_lo:[1,0,0] neg_hi:[1,0,0]
	global_store_dwordx2 v[34:35], v[26:27], off
	v_pk_add_f32 v[26:27], v[24:25], v[30:31] neg_lo:[0,1] neg_hi:[0,1]
	v_mov_b32_e32 v33, v31
	v_mov_b32_e32 v31, v32
	v_mov_b32_e32 v32, v24
	v_lshl_add_u64 v[118:119], v[136:137], 3, v[40:41]
	v_pk_mul_f32 v[136:137], v[150:151], s[10:11]
	v_pk_mul_f32 v[138:139], v[138:139], s[6:7]
	v_pk_add_f32 v[32:33], v[32:33], v[30:31]
	v_mov_b32_e32 v24, v145
	v_pk_fma_f32 v[146:147], v[152:153], s[4:5], v[136:137]
	v_pk_fma_f32 v[34:35], v[26:27], s[16:17], v[138:139]
	v_pk_add_f32 v[32:33], v[24:25], v[32:33]
	v_pk_add_f32 v[122:123], v[146:147], v[148:149]
	v_pk_fma_f32 v[34:35], v[32:33], s[0:1], v[34:35] op_sel_hi:[1,0,1]
	v_add_u32_e32 v45, 0x467, v159
	v_pk_add_f32 v[144:145], v[122:123], v[34:35] neg_lo:[0,1] neg_hi:[0,1]
	v_pk_add_f32 v[146:147], v[122:123], v[34:35]
	v_mov_b32_e32 v35, v145
	v_mov_b32_e32 v34, v146
	v_mad_u64_u32 v[150:151], s[18:19], s8, v45, 0
	global_store_dwordx2 v[118:119], v[34:35], off
	v_mov_b32_e32 v34, v151
	v_mad_u64_u32 v[34:35], s[18:19], s9, v45, v[34:35]
	v_pk_mul_f32 v[122:123], v[152:153], s[4:5]
	v_pk_mul_f32 v[26:27], v[26:27], s[16:17]
	v_mov_b32_e32 v151, v34
	v_mov_b32_e32 v34, v136
	;; [unrolled: 1-line block ×3, first 2 shown]
	v_pk_add_f32 v[140:141], v[140:141], v[28:29] neg_lo:[0,1] neg_hi:[0,1]
	v_pk_add_f32 v[24:25], v[30:31], v[24:25] neg_lo:[0,1] neg_hi:[0,1]
	v_mov_b32_e32 v30, v138
	v_mov_b32_e32 v31, v27
	v_pk_fma_f32 v[28:29], v[140:141], s[12:13], v[34:35] op_sel_hi:[1,0,1] neg_lo:[1,0,1] neg_hi:[1,0,1]
	v_pk_fma_f32 v[30:31], v[24:25], s[2:3], v[30:31] op_sel_hi:[1,0,1] neg_lo:[1,0,1] neg_hi:[1,0,1]
	v_pk_add_f32 v[28:29], v[28:29], v[148:149]
	v_pk_fma_f32 v[30:31], v[32:33], s[0:1], v[30:31] op_sel_hi:[1,0,1]
	v_lshl_add_u64 v[118:119], v[142:143], 3, v[40:41]
	v_pk_add_f32 v[142:143], v[28:29], v[30:31] neg_lo:[0,1] neg_hi:[0,1]
	v_pk_add_f32 v[152:153], v[28:29], v[30:31]
	v_mov_b32_e32 v29, v143
	v_mov_b32_e32 v28, v152
	v_mov_b32_e32 v27, v139
	global_store_dwordx2 v[118:119], v[28:29], off
	v_pk_fma_f32 v[34:35], v[24:25], s[2:3], v[26:27] op_sel_hi:[1,0,1] neg_lo:[0,0,1] neg_hi:[0,0,1]
	global_load_dwordx4 v[24:27], v[116:117], off offset:2704
	global_load_dwordx4 v[28:31], v[116:117], off offset:2688
	v_pk_fma_f32 v[138:139], v[32:33], s[0:1], v[34:35] op_sel_hi:[1,0,1]
	global_load_dwordx4 v[32:35], v[116:117], off offset:2720
	v_mov_b32_e32 v123, v137
	v_pk_fma_f32 v[136:137], v[140:141], s[12:13], v[122:123] op_sel_hi:[1,0,1] neg_lo:[0,0,1] neg_hi:[0,0,1]
	v_lshl_add_u64 v[140:141], v[150:151], 3, v[40:41]
	v_pk_add_f32 v[136:137], v[136:137], v[148:149]
	v_add_u32_e32 v45, 0x5be, v159
	v_pk_add_f32 v[148:149], v[136:137], v[138:139]
	v_pk_add_f32 v[136:137], v[136:137], v[138:139] neg_lo:[0,1] neg_hi:[0,1]
	v_mov_b32_e32 v139, v149
	v_mov_b32_e32 v138, v136
	ds_read2_b32 v[118:119], v157 offset0:157 offset1:206
	ds_read2_b32 v[116:117], v160 offset0:111 offset1:160
	global_store_dwordx2 v[140:141], v[138:139], off
	v_mad_u64_u32 v[138:139], s[18:19], s8, v45, 0
	v_mov_b32_e32 v74, v139
	v_mad_u64_u32 v[140:141], s[18:19], s9, v45, v[74:75]
	v_mov_b32_e32 v139, v140
	ds_read2_b32 v[122:123], v158 offset0:65 offset1:114
	v_mov_b32_e32 v149, v137
	v_lshl_add_u64 v[138:139], v[138:139], 3, v[40:41]
	v_add_u32_e32 v45, 0x715, v159
	global_store_dwordx2 v[138:139], v[148:149], off
	v_mad_u64_u32 v[138:139], s[18:19], s8, v45, 0
	v_mov_b32_e32 v74, v139
	v_mad_u64_u32 v[148:149], s[18:19], s9, v45, v[74:75]
	s_waitcnt vmcnt(8)
	v_mul_f32_e32 v45, v79, v133
	v_mov_b32_e32 v139, v148
	v_fma_f32 v124, v132, v125, -v45
	v_mul_f32_e32 v45, v70, v131
	v_mov_b32_e32 v143, v153
	s_waitcnt lgkmcnt(0)
	v_fma_f32 v146, v130, v122, -v45
	v_lshl_add_u64 v[138:139], v[138:139], 3, v[40:41]
	v_add_u32_e32 v45, 0x86c, v159
	global_store_dwordx2 v[138:139], v[142:143], off
	v_mad_u64_u32 v[138:139], s[18:19], s8, v45, 0
	v_mov_b32_e32 v74, v139
	v_mad_u64_u32 v[142:143], s[18:19], s9, v45, v[74:75]
	v_mov_b32_e32 v139, v142
	v_lshl_add_u64 v[138:139], v[138:139], 3, v[40:41]
	v_mov_b32_e32 v145, v147
	v_add_u32_e32 v45, 0x93, v159
	global_store_dwordx2 v[138:139], v[144:145], off
	v_mad_u64_u32 v[138:139], s[18:19], s8, v45, 0
	v_mov_b32_e32 v74, v139
	v_mad_u64_u32 v[142:143], s[18:19], s9, v45, v[74:75]
	v_add_u32_e32 v45, 0x1ea, v159
	v_mov_b32_e32 v139, v142
	v_mad_u64_u32 v[142:143], s[18:19], s8, v45, 0
	v_mov_b32_e32 v74, v143
	v_mad_u64_u32 v[144:145], s[18:19], s9, v45, v[74:75]
	v_mul_f32_e32 v101, v17, v103
	v_mov_b32_e32 v143, v144
	v_mov_b32_e32 v74, v133
	;; [unrolled: 1-line block ×5, first 2 shown]
	v_fmac_f32_e32 v101, v59, v16
	v_mov_b32_e32 v145, v36
	v_mov_b32_e32 v120, v125
	;; [unrolled: 1-line block ×3, first 2 shown]
	v_pk_mul_f32 v[132:133], v[76:77], v[132:133]
	v_mul_f32_e32 v137, v135, v118
	v_pk_fma_f32 v[148:149], v[74:75], v[100:101], v[132:133]
	v_pk_fma_f32 v[132:133], v[144:145], v[120:121], v[132:133] neg_lo:[0,0,1] neg_hi:[0,0,1]
	v_mov_b32_e32 v144, v37
	v_mov_b32_e32 v37, v135
	;; [unrolled: 1-line block ×4, first 2 shown]
	v_fmac_f32_e32 v137, v68, v134
	v_mov_b32_e32 v145, v134
	v_mov_b32_e32 v134, v121
	;; [unrolled: 1-line block ×3, first 2 shown]
	v_pk_mul_f32 v[36:37], v[150:151], v[36:37]
	v_mul_f32_e32 v141, v129, v127
	v_add_u32_e32 v45, 0x341, v159
	v_mov_b32_e32 v76, v131
	v_mov_b32_e32 v120, v131
	v_pk_fma_f32 v[150:151], v[144:145], v[134:135], v[36:37]
	v_pk_fma_f32 v[36:37], v[144:145], v[134:135], v[36:37] neg_lo:[0,0,1] neg_hi:[0,0,1]
	v_mov_b32_e32 v134, v70
	v_mov_b32_e32 v135, v66
	;; [unrolled: 1-line block ×3, first 2 shown]
	v_fmac_f32_e32 v141, v75, v128
	v_pk_mul_f32 v[130:131], v[134:135], v[130:131]
	v_mov_b32_e32 v134, v39
	v_mov_b32_e32 v135, v128
	;; [unrolled: 1-line block ×3, first 2 shown]
	v_mad_u64_u32 v[128:129], s[18:19], s8, v45, 0
	v_mov_b32_e32 v36, v129
	v_mad_u64_u32 v[144:145], s[18:19], s9, v45, v[36:37]
	v_add_u32_e32 v45, 0x498, v159
	v_mad_u64_u32 v[152:153], s[18:19], s8, v45, 0
	v_mov_b32_e32 v74, v66
	v_mov_b32_e32 v36, v153
	;; [unrolled: 1-line block ×3, first 2 shown]
	v_pk_mul_f32 v[38:39], v[74:75], v[38:39]
	v_mad_u64_u32 v[74:75], s[18:19], s9, v45, v[36:37]
	v_add_u32_e32 v45, 0x5ef, v159
	v_mov_b32_e32 v126, v116
	v_pk_fma_f32 v[154:155], v[134:135], v[126:127], v[38:39]
	v_pk_fma_f32 v[38:39], v[134:135], v[126:127], v[38:39] neg_lo:[0,0,1] neg_hi:[0,0,1]
	v_mad_u64_u32 v[126:127], s[18:19], s8, v45, 0
	v_mov_b32_e32 v36, v127
	v_mov_b32_e32 v153, v74
	v_mad_u64_u32 v[74:75], s[18:19], s9, v45, v[36:37]
	v_mov_b32_e32 v127, v74
	v_mov_b32_e32 v74, v122
	;; [unrolled: 1-line block ×3, first 2 shown]
	v_pk_fma_f32 v[120:121], v[120:121], v[74:75], v[130:131] neg_lo:[0,0,1] neg_hi:[0,0,1]
	v_pk_fma_f32 v[74:75], v[76:77], v[122:123], v[130:131]
	v_mov_b32_e32 v149, v133
	v_mov_b32_e32 v75, v121
	;; [unrolled: 1-line block ×4, first 2 shown]
	v_pk_add_f32 v[36:37], v[154:155], v[150:151]
	v_pk_add_f32 v[38:39], v[74:75], v[148:149]
	v_mov_b32_e32 v129, v144
	v_add_f32_e32 v145, v146, v124
	v_add_f32_e32 v134, v141, v137
	v_mov_b32_e32 v135, v39
	v_mov_b32_e32 v144, v36
	v_pk_add_f32 v[130:131], v[134:135], v[144:145] neg_lo:[0,1] neg_hi:[0,1]
	v_mov_b32_e32 v135, v37
	v_mov_b32_e32 v144, v38
	v_pk_add_f32 v[76:77], v[74:75], v[148:149] neg_lo:[0,1] neg_hi:[0,1]
	v_pk_add_f32 v[148:149], v[36:37], v[38:39] neg_lo:[0,1] neg_hi:[0,1]
	v_mov_b32_e32 v37, v39
	v_pk_add_f32 v[38:39], v[134:135], v[144:145]
	v_mov_b32_e32 v140, v121
	v_pk_add_f32 v[156:157], v[36:37], v[38:39]
	v_add_u32_e32 v37, v97, v65
	v_add_u32_e32 v39, v92, v73
	ds_read_b32 v65, v37
	ds_read_b32 v73, v39
	v_mov_b32_e32 v136, v133
	v_mov_b32_e32 v147, v154
	;; [unrolled: 1-line block ×3, first 2 shown]
	v_pk_add_f32 v[132:133], v[140:141], v[136:137] neg_lo:[0,1] neg_hi:[0,1]
	v_lshl_add_u64 v[136:137], v[138:139], 3, v[40:41]
	v_lshl_add_u64 v[138:139], v[142:143], 3, v[40:41]
	v_pk_add_f32 v[142:143], v[154:155], v[150:151] neg_lo:[0,1] neg_hi:[0,1]
	v_pk_add_f32 v[124:125], v[146:147], v[124:125] neg_lo:[0,1] neg_hi:[0,1]
	v_mov_b32_e32 v146, v143
	v_mov_b32_e32 v147, v125
	;; [unrolled: 1-line block ×4, first 2 shown]
	s_waitcnt lgkmcnt(0)
	v_pk_add_f32 v[72:73], v[72:73], v[156:157]
	v_lshl_add_u64 v[140:141], v[152:153], 3, v[40:41]
	v_pk_add_f32 v[146:147], v[146:147], v[150:151] neg_lo:[0,1] neg_hi:[0,1]
	v_pk_fma_f32 v[152:153], v[156:157], s[14:15], v[72:73] op_sel_hi:[1,0,1] neg_lo:[1,0,0] neg_hi:[1,0,0]
	global_store_dwordx2 v[136:137], v[72:73], off
	v_pk_add_f32 v[72:73], v[132:133], v[124:125] neg_lo:[0,1] neg_hi:[0,1]
	v_mov_b32_e32 v137, v125
	v_mov_b32_e32 v125, v76
	;; [unrolled: 1-line block ×3, first 2 shown]
	v_pk_mul_f32 v[130:131], v[130:131], s[10:11]
	v_pk_mul_f32 v[146:147], v[146:147], s[6:7]
	v_pk_add_f32 v[136:137], v[136:137], v[124:125]
	v_mov_b32_e32 v132, v143
	s_movk_i32 s1, 0x80a
	v_pk_fma_f32 v[150:151], v[148:149], s[4:5], v[130:131]
	v_pk_fma_f32 v[154:155], v[72:73], s[16:17], v[146:147]
	v_pk_add_f32 v[136:137], v[132:133], v[136:137]
	v_pk_add_f32 v[150:151], v[150:151], v[152:153]
	v_pk_fma_f32 v[142:143], v[136:137], s[0:1], v[154:155] op_sel_hi:[1,0,1]
	s_waitcnt vmcnt(5)
	v_mul_f32_e32 v36, v62, v33
	v_pk_add_f32 v[154:155], v[150:151], v[142:143] neg_lo:[0,1] neg_hi:[0,1]
	v_pk_add_f32 v[142:143], v[150:151], v[142:143]
	v_fma_f32 v70, v32, v112, -v36
	v_mul_f32_e32 v36, v71, v31
	v_add_u32_e32 v39, 0x746, v159
	v_mov_b32_e32 v150, v142
	v_mov_b32_e32 v151, v155
	v_fma_f32 v120, v30, v123, -v36
	global_store_dwordx2 v[138:139], v[150:151], off
	v_mad_u64_u32 v[138:139], s[18:19], s8, v39, 0
	v_add_f32_e32 v37, v120, v70
	v_mov_b32_e32 v36, v139
	v_mad_u64_u32 v[150:151], s[18:19], s9, v39, v[36:37]
	v_pk_mul_f32 v[148:149], v[148:149], s[4:5]
	v_pk_mul_f32 v[72:73], v[72:73], s[16:17]
	v_mov_b32_e32 v139, v150
	v_mov_b32_e32 v150, v130
	v_mov_b32_e32 v151, v149
	v_pk_add_f32 v[134:135], v[144:145], v[134:135] neg_lo:[0,1] neg_hi:[0,1]
	v_pk_add_f32 v[124:125], v[124:125], v[132:133] neg_lo:[0,1] neg_hi:[0,1]
	v_mov_b32_e32 v132, v146
	v_mov_b32_e32 v133, v73
	v_pk_fma_f32 v[144:145], v[134:135], s[12:13], v[150:151] op_sel_hi:[1,0,1] neg_lo:[1,0,1] neg_hi:[1,0,1]
	v_pk_fma_f32 v[132:133], v[124:125], s[2:3], v[132:133] op_sel_hi:[1,0,1] neg_lo:[1,0,1] neg_hi:[1,0,1]
	v_pk_add_f32 v[144:145], v[144:145], v[152:153]
	v_pk_fma_f32 v[132:133], v[136:137], s[0:1], v[132:133] op_sel_hi:[1,0,1]
	v_lshl_add_u64 v[128:129], v[128:129], 3, v[40:41]
	v_pk_add_f32 v[150:151], v[144:145], v[132:133] neg_lo:[0,1] neg_hi:[0,1]
	v_pk_add_f32 v[132:133], v[144:145], v[132:133]
	v_add_u32_e32 v39, 0x89d, v159
	v_mov_b32_e32 v144, v132
	v_mov_b32_e32 v145, v151
	global_store_dwordx2 v[128:129], v[144:145], off
	v_mad_u64_u32 v[128:129], s[18:19], s8, v39, 0
	v_mov_b32_e32 v36, v129
	v_mov_b32_e32 v73, v147
	v_mad_u64_u32 v[144:145], s[18:19], s9, v39, v[36:37]
	v_pk_fma_f32 v[72:73], v[124:125], s[2:3], v[72:73] op_sel_hi:[1,0,1] neg_lo:[0,0,1] neg_hi:[0,0,1]
	v_mov_b32_e32 v149, v131
	v_add_u32_e32 v36, 0xc4, v159
	s_mov_b32 s3, 0xbf112a8b
	v_pk_fma_f32 v[124:125], v[134:135], s[12:13], v[148:149] op_sel_hi:[1,0,1] neg_lo:[0,0,1] neg_hi:[0,0,1]
	v_mul_hi_u32 v39, v36, s3
	v_pk_fma_f32 v[72:73], v[136:137], s[0:1], v[72:73] op_sel_hi:[1,0,1]
	v_pk_add_f32 v[124:125], v[124:125], v[152:153]
	v_lshrrev_b32_e32 v39, 8, v39
	v_pk_add_f32 v[130:131], v[124:125], v[72:73]
	v_pk_add_f32 v[72:73], v[124:125], v[72:73] neg_lo:[0,1] neg_hi:[0,1]
	v_mad_u32_u24 v39, v39, s1, v36
	v_mov_b32_e32 v124, v72
	v_mov_b32_e32 v125, v131
	;; [unrolled: 1-line block ×3, first 2 shown]
	v_mad_u64_u32 v[72:73], s[18:19], s8, v39, 0
	v_mov_b32_e32 v36, v73
	global_store_dwordx2 v[140:141], v[124:125], off
	v_mad_u64_u32 v[124:125], s[18:19], s9, v39, v[36:37]
	v_add_u32_e32 v45, 0x157, v39
	v_mov_b32_e32 v73, v124
	v_mad_u64_u32 v[124:125], s[18:19], s8, v45, 0
	v_lshl_add_u64 v[126:127], v[126:127], 3, v[40:41]
	v_mov_b32_e32 v36, v125
	global_store_dwordx2 v[126:127], v[130:131], off
	v_mad_u64_u32 v[126:127], s[18:19], s9, v45, v[36:37]
	v_add_u32_e32 v45, 0x2ae, v39
	v_mov_b32_e32 v129, v144
	v_mov_b32_e32 v125, v126
	v_mad_u64_u32 v[126:127], s[18:19], s8, v45, 0
	v_lshl_add_u64 v[138:139], v[138:139], 3, v[40:41]
	v_lshl_add_u64 v[128:129], v[128:129], 3, v[40:41]
	v_mov_b32_e32 v151, v133
	v_mov_b32_e32 v155, v143
	;; [unrolled: 1-line block ×3, first 2 shown]
	global_store_dwordx2 v[138:139], v[150:151], off
	global_store_dwordx2 v[128:129], v[154:155], off
	v_mad_u64_u32 v[128:129], s[18:19], s9, v45, v[36:37]
	v_add_u32_e32 v45, 0x405, v39
	v_mov_b32_e32 v127, v128
	v_mad_u64_u32 v[128:129], s[18:19], s8, v45, 0
	v_mov_b32_e32 v36, v129
	v_mad_u64_u32 v[130:131], s[18:19], s9, v45, v[36:37]
	v_add_u32_e32 v45, 0x55c, v39
	v_mov_b32_e32 v129, v130
	v_mad_u64_u32 v[130:131], s[18:19], s8, v45, 0
	v_mov_b32_e32 v36, v131
	;; [unrolled: 5-line block ×4, first 2 shown]
	v_mad_u64_u32 v[136:137], s[18:19], s9, v39, v[36:37]
	v_mov_b32_e32 v135, v136
	v_mov_b32_e32 v36, v33
	;; [unrolled: 1-line block ×9, first 2 shown]
	v_pk_mul_f32 v[32:33], v[140:141], v[32:33]
	v_mov_b32_e32 v68, v60
	v_pk_fma_f32 v[140:141], v[36:37], v[112:113], v[32:33]
	v_pk_fma_f32 v[32:33], v[136:137], v[138:139], v[32:33] neg_lo:[0,0,1] neg_hi:[0,0,1]
	v_mov_b32_e32 v138, v25
	v_mov_b32_e32 v25, v35
	v_mul_f32_e32 v77, v35, v119
	v_mov_b32_e32 v139, v34
	v_mov_b32_e32 v118, v110
	v_pk_mul_f32 v[24:25], v[68:69], v[24:25]
	v_fmac_f32_e32 v77, v69, v34
	v_mov_b32_e32 v32, v31
	v_mov_b32_e32 v136, v31
	;; [unrolled: 1-line block ×4, first 2 shown]
	v_pk_fma_f32 v[34:35], v[138:139], v[118:119], v[24:25]
	v_pk_fma_f32 v[24:25], v[138:139], v[118:119], v[24:25] neg_lo:[0,0,1] neg_hi:[0,0,1]
	v_pk_mul_f32 v[30:31], v[66:67], v[30:31]
	v_mov_b32_e32 v24, v27
	v_mov_b32_e32 v66, v67
	;; [unrolled: 1-line block ×4, first 2 shown]
	v_mul_f32_e32 v75, v29, v102
	v_mov_b32_e32 v137, v26
	v_mov_b32_e32 v36, v123
	;; [unrolled: 1-line block ×7, first 2 shown]
	v_pk_mul_f32 v[26:27], v[66:67], v[26:27]
	v_fmac_f32_e32 v75, v58, v28
	v_pk_fma_f32 v[122:123], v[32:33], v[36:37], v[30:31]
	v_pk_fma_f32 v[30:31], v[136:137], v[116:117], v[30:31] neg_lo:[0,0,1] neg_hi:[0,0,1]
	v_pk_fma_f32 v[28:29], v[24:25], v[68:69], v[26:27]
	v_pk_fma_f32 v[24:25], v[24:25], v[68:69], v[26:27] neg_lo:[0,0,1] neg_hi:[0,0,1]
	v_mov_b32_e32 v141, v33
	v_mov_b32_e32 v123, v31
	v_mov_b32_e32 v29, v25
	v_pk_add_f32 v[24:25], v[28:29], v[34:35]
	v_pk_add_f32 v[26:27], v[122:123], v[140:141]
	v_add_f32_e32 v38, v75, v77
	v_mov_b32_e32 v39, v27
	v_mov_b32_e32 v36, v24
	v_pk_add_f32 v[66:67], v[38:39], v[36:37] neg_lo:[0,1] neg_hi:[0,1]
	v_mov_b32_e32 v39, v25
	v_mov_b32_e32 v36, v26
	v_pk_add_f32 v[68:69], v[24:25], v[26:27] neg_lo:[0,1] neg_hi:[0,1]
	v_pk_add_f32 v[118:119], v[38:39], v[36:37]
	v_mov_b32_e32 v25, v27
	v_pk_add_f32 v[24:25], v[24:25], v[118:119]
	v_pk_mul_f32 v[66:67], v[66:67], s[10:11]
	v_pk_add_f32 v[26:27], v[64:65], v[24:25]
	v_pk_mul_f32 v[116:117], v[68:69], s[4:5]
	v_pk_fma_f32 v[68:69], v[68:69], s[4:5], v[66:67]
	v_pk_fma_f32 v[24:25], v[24:25], s[14:15], v[26:27] op_sel_hi:[1,0,1] neg_lo:[1,0,0] neg_hi:[1,0,0]
	v_mov_b32_e32 v74, v31
	v_mov_b32_e32 v76, v33
	;; [unrolled: 1-line block ×4, first 2 shown]
	v_pk_add_f32 v[136:137], v[122:123], v[140:141] neg_lo:[0,1] neg_hi:[0,1]
	v_pk_add_f32 v[64:65], v[68:69], v[24:25]
	v_pk_add_f32 v[68:69], v[28:29], v[34:35] neg_lo:[0,1] neg_hi:[0,1]
	v_pk_add_f32 v[30:31], v[74:75], v[76:77] neg_lo:[0,1] neg_hi:[0,1]
	;; [unrolled: 1-line block ×3, first 2 shown]
	v_mov_b32_e32 v32, v69
	v_mov_b32_e32 v33, v29
	;; [unrolled: 1-line block ×4, first 2 shown]
	v_pk_add_f32 v[32:33], v[32:33], v[34:35] neg_lo:[0,1] neg_hi:[0,1]
	v_pk_add_f32 v[34:35], v[30:31], v[28:29] neg_lo:[0,1] neg_hi:[0,1]
	v_mov_b32_e32 v74, v30
	v_mov_b32_e32 v75, v29
	;; [unrolled: 1-line block ×3, first 2 shown]
	v_pk_mul_f32 v[32:33], v[32:33], s[6:7]
	v_pk_add_f32 v[74:75], v[74:75], v[28:29]
	v_mov_b32_e32 v30, v69
	v_pk_mul_f32 v[70:71], v[34:35], s[16:17]
	v_pk_fma_f32 v[34:35], v[34:35], s[16:17], v[32:33]
	v_pk_add_f32 v[68:69], v[30:31], v[74:75]
	v_lshl_add_u64 v[72:73], v[72:73], 3, v[40:41]
	v_pk_fma_f32 v[34:35], v[68:69], s[0:1], v[34:35] op_sel_hi:[1,0,1]
	v_lshl_add_u64 v[124:125], v[124:125], 3, v[40:41]
	v_pk_add_f32 v[74:75], v[64:65], v[34:35] neg_lo:[0,1] neg_hi:[0,1]
	v_pk_add_f32 v[34:35], v[64:65], v[34:35]
	global_store_dwordx2 v[72:73], v[26:27], off
	v_mov_b32_e32 v26, v34
	v_mov_b32_e32 v27, v75
	global_store_dwordx2 v[124:125], v[26:27], off
	v_mov_b32_e32 v26, v66
	v_mov_b32_e32 v27, v117
	v_pk_add_f32 v[36:37], v[36:37], v[38:39] neg_lo:[0,1] neg_hi:[0,1]
	v_pk_add_f32 v[28:29], v[28:29], v[30:31] neg_lo:[0,1] neg_hi:[0,1]
	v_mov_b32_e32 v30, v32
	v_mov_b32_e32 v31, v71
	v_pk_fma_f32 v[26:27], v[36:37], s[12:13], v[26:27] op_sel_hi:[1,0,1] neg_lo:[1,0,1] neg_hi:[1,0,1]
	v_pk_fma_f32 v[30:31], v[28:29], s[2:3], v[30:31] op_sel_hi:[1,0,1] neg_lo:[1,0,1] neg_hi:[1,0,1]
	v_pk_add_f32 v[26:27], v[26:27], v[24:25]
	v_pk_fma_f32 v[30:31], v[68:69], s[0:1], v[30:31] op_sel_hi:[1,0,1]
	v_lshl_add_u64 v[126:127], v[126:127], 3, v[40:41]
	v_pk_add_f32 v[38:39], v[26:27], v[30:31] neg_lo:[0,1] neg_hi:[0,1]
	v_pk_add_f32 v[26:27], v[26:27], v[30:31]
	v_mov_b32_e32 v31, v39
	v_mov_b32_e32 v30, v26
	;; [unrolled: 1-line block ×4, first 2 shown]
	global_store_dwordx2 v[126:127], v[30:31], off
	v_pk_fma_f32 v[28:29], v[28:29], s[2:3], v[70:71] op_sel_hi:[1,0,1] neg_lo:[0,0,1] neg_hi:[0,0,1]
	v_pk_fma_f32 v[30:31], v[36:37], s[12:13], v[116:117] op_sel_hi:[1,0,1] neg_lo:[0,0,1] neg_hi:[0,0,1]
	v_pk_fma_f32 v[28:29], v[68:69], s[0:1], v[28:29] op_sel_hi:[1,0,1]
	v_pk_add_f32 v[24:25], v[30:31], v[24:25]
	v_lshl_add_u64 v[128:129], v[128:129], 3, v[40:41]
	v_pk_add_f32 v[30:31], v[24:25], v[28:29]
	v_pk_add_f32 v[24:25], v[24:25], v[28:29] neg_lo:[0,1] neg_hi:[0,1]
	v_mov_b32_e32 v29, v31
	v_mov_b32_e32 v28, v24
	v_add_u32_e32 v24, 0xf5, v159
	v_mov_b32_e32 v31, v25
	v_mul_hi_u32 v25, v24, s3
	v_lshl_add_u64 v[130:131], v[130:131], 3, v[40:41]
	v_lshl_add_u64 v[132:133], v[132:133], 3, v[40:41]
	v_mov_b32_e32 v39, v27
	v_lshrrev_b32_e32 v25, 8, v25
	global_store_dwordx2 v[128:129], v[28:29], off
	global_store_dwordx2 v[130:131], v[30:31], off
	;; [unrolled: 1-line block ×3, first 2 shown]
	v_mad_u32_u24 v38, v25, s1, v24
	v_mad_u64_u32 v[24:25], s[18:19], s8, v38, 0
	v_mov_b32_e32 v26, v25
	v_mad_u64_u32 v[26:27], s[18:19], s9, v38, v[26:27]
	v_add_u32_e32 v29, 0x157, v38
	v_mov_b32_e32 v25, v26
	v_mad_u64_u32 v[26:27], s[18:19], s8, v29, 0
	v_mov_b32_e32 v28, v27
	v_mad_u64_u32 v[28:29], s[18:19], s9, v29, v[28:29]
	v_add_u32_e32 v31, 0x2ae, v38
	v_mov_b32_e32 v27, v28
	;; [unrolled: 5-line block ×3, first 2 shown]
	v_mad_u64_u32 v[30:31], s[18:19], s8, v33, 0
	v_mov_b32_e32 v32, v31
	v_mov_b32_e32 v75, v35
	v_mad_u64_u32 v[32:33], s[18:19], s9, v33, v[32:33]
	v_add_u32_e32 v35, 0x55c, v38
	v_mov_b32_e32 v31, v32
	v_mad_u64_u32 v[32:33], s[18:19], s8, v35, 0
	v_mov_b32_e32 v34, v33
	v_mad_u64_u32 v[34:35], s[18:19], s9, v35, v[34:35]
	v_add_u32_e32 v37, 0x6b3, v38
	v_mov_b32_e32 v33, v34
	v_mad_u64_u32 v[34:35], s[18:19], s8, v37, 0
	;; [unrolled: 5-line block ×3, first 2 shown]
	v_mov_b32_e32 v38, v37
	v_mad_u64_u32 v[38:39], s[18:19], s9, v39, v[38:39]
	v_mov_b32_e32 v37, v38
	v_mov_b32_e32 v38, v21
	;; [unrolled: 1-line block ×8, first 2 shown]
	v_pk_mul_f32 v[20:21], v[60:61], v[20:21]
	v_mov_b32_e32 v62, v19
	v_pk_fma_f32 v[38:39], v[38:39], v[58:59], v[20:21]
	v_pk_fma_f32 v[20:21], v[64:65], v[110:111], v[20:21] neg_lo:[0,0,1] neg_hi:[0,0,1]
	v_mov_b32_e32 v66, v54
	v_mov_b32_e32 v20, v19
	;; [unrolled: 1-line block ×7, first 2 shown]
	v_pk_mul_f32 v[18:19], v[66:67], v[18:19]
	v_mov_b32_e32 v60, v61
	v_pk_fma_f32 v[66:67], v[20:21], v[88:89], v[18:19]
	v_pk_fma_f32 v[18:19], v[62:63], v[64:65], v[18:19] neg_lo:[0,0,1] neg_hi:[0,0,1]
	v_mov_b32_e32 v64, v13
	v_mov_b32_e32 v61, v52
	;; [unrolled: 1-line block ×3, first 2 shown]
	v_mul_f32_e32 v105, v23, v86
	v_mov_b32_e32 v65, v22
	v_mov_b32_e32 v68, v111
	;; [unrolled: 1-line block ×3, first 2 shown]
	v_pk_mul_f32 v[12:13], v[60:61], v[12:13]
	v_fmac_f32_e32 v105, v52, v22
	v_pk_fma_f32 v[22:23], v[64:65], v[68:69], v[12:13]
	v_pk_fma_f32 v[12:13], v[64:65], v[68:69], v[12:13] neg_lo:[0,0,1] neg_hi:[0,0,1]
	v_mov_b32_e32 v58, v50
	v_mov_b32_e32 v12, v15
	v_mov_b32_e32 v15, v17
	v_mov_b32_e32 v23, v13
	v_mov_b32_e32 v13, v16
	v_mov_b32_e32 v102, v82
	v_pk_mul_f32 v[14:15], v[58:59], v[14:15]
	v_mov_b32_e32 v39, v21
	v_pk_fma_f32 v[16:17], v[12:13], v[102:103], v[14:15]
	v_pk_fma_f32 v[12:13], v[12:13], v[102:103], v[14:15] neg_lo:[0,0,1] neg_hi:[0,0,1]
	v_mov_b32_e32 v67, v19
	v_mov_b32_e32 v17, v13
	v_pk_add_f32 v[12:13], v[16:17], v[22:23]
	v_pk_add_f32 v[14:15], v[66:67], v[38:39]
	v_add_f32_e32 v115, v108, v106
	v_add_f32_e32 v78, v101, v105
	v_mov_b32_e32 v79, v15
	v_mov_b32_e32 v114, v12
	v_pk_add_f32 v[62:63], v[66:67], v[38:39] neg_lo:[0,1] neg_hi:[0,1]
	v_pk_add_f32 v[38:39], v[78:79], v[114:115] neg_lo:[0,1] neg_hi:[0,1]
	v_mov_b32_e32 v79, v13
	v_mov_b32_e32 v114, v14
	v_pk_add_f32 v[58:59], v[12:13], v[14:15] neg_lo:[0,1] neg_hi:[0,1]
	v_pk_add_f32 v[64:65], v[78:79], v[114:115]
	v_mov_b32_e32 v13, v15
	v_pk_add_f32 v[12:13], v[12:13], v[64:65]
	v_pk_mul_f32 v[38:39], v[38:39], s[10:11]
	v_pk_add_f32 v[14:15], v[56:57], v[12:13]
	v_pk_mul_f32 v[60:61], v[58:59], s[4:5]
	v_pk_fma_f32 v[58:59], v[58:59], s[4:5], v[38:39]
	v_pk_fma_f32 v[12:13], v[12:13], s[14:15], v[14:15] op_sel_hi:[1,0,1] neg_lo:[1,0,0] neg_hi:[1,0,0]
	v_mov_b32_e32 v100, v19
	v_mov_b32_e32 v104, v21
	;; [unrolled: 1-line block ×4, first 2 shown]
	v_pk_add_f32 v[56:57], v[58:59], v[12:13]
	v_pk_add_f32 v[58:59], v[16:17], v[22:23] neg_lo:[0,1] neg_hi:[0,1]
	v_pk_add_f32 v[18:19], v[100:101], v[104:105] neg_lo:[0,1] neg_hi:[0,1]
	v_pk_add_f32 v[16:17], v[108:109], v[106:107] neg_lo:[0,1] neg_hi:[0,1]
	v_mov_b32_e32 v20, v59
	v_mov_b32_e32 v21, v17
	;; [unrolled: 1-line block ×4, first 2 shown]
	v_pk_add_f32 v[20:21], v[20:21], v[22:23] neg_lo:[0,1] neg_hi:[0,1]
	v_pk_add_f32 v[22:23], v[18:19], v[16:17] neg_lo:[0,1] neg_hi:[0,1]
	v_mov_b32_e32 v66, v18
	v_mov_b32_e32 v67, v17
	;; [unrolled: 1-line block ×3, first 2 shown]
	v_pk_mul_f32 v[20:21], v[20:21], s[6:7]
	v_pk_add_f32 v[62:63], v[66:67], v[16:17]
	v_mov_b32_e32 v18, v59
	v_pk_mul_f32 v[64:65], v[22:23], s[16:17]
	v_pk_fma_f32 v[22:23], v[22:23], s[16:17], v[20:21]
	v_pk_add_f32 v[58:59], v[18:19], v[62:63]
	v_lshl_add_u64 v[134:135], v[134:135], 3, v[40:41]
	v_pk_fma_f32 v[22:23], v[58:59], s[0:1], v[22:23] op_sel_hi:[1,0,1]
	v_lshl_add_u64 v[24:25], v[24:25], 3, v[40:41]
	v_pk_add_f32 v[62:63], v[56:57], v[22:23] neg_lo:[0,1] neg_hi:[0,1]
	v_pk_add_f32 v[22:23], v[56:57], v[22:23]
	global_store_dwordx2 v[134:135], v[74:75], off
	v_lshl_add_u64 v[26:27], v[26:27], 3, v[40:41]
	global_store_dwordx2 v[24:25], v[14:15], off
	v_mov_b32_e32 v14, v22
	v_mov_b32_e32 v15, v63
	global_store_dwordx2 v[26:27], v[14:15], off
	v_mov_b32_e32 v14, v38
	v_mov_b32_e32 v15, v61
	v_pk_add_f32 v[24:25], v[114:115], v[78:79] neg_lo:[0,1] neg_hi:[0,1]
	v_pk_add_f32 v[16:17], v[16:17], v[18:19] neg_lo:[0,1] neg_hi:[0,1]
	v_mov_b32_e32 v18, v20
	v_mov_b32_e32 v19, v65
	v_pk_fma_f32 v[14:15], v[24:25], s[12:13], v[14:15] op_sel_hi:[1,0,1] neg_lo:[1,0,1] neg_hi:[1,0,1]
	v_pk_fma_f32 v[18:19], v[16:17], s[2:3], v[18:19] op_sel_hi:[1,0,1] neg_lo:[1,0,1] neg_hi:[1,0,1]
	v_pk_add_f32 v[14:15], v[14:15], v[12:13]
	v_pk_fma_f32 v[18:19], v[58:59], s[0:1], v[18:19] op_sel_hi:[1,0,1]
	v_lshl_add_u64 v[28:29], v[28:29], 3, v[40:41]
	v_pk_add_f32 v[26:27], v[14:15], v[18:19] neg_lo:[0,1] neg_hi:[0,1]
	v_pk_add_f32 v[14:15], v[14:15], v[18:19]
	v_mov_b32_e32 v19, v27
	v_mov_b32_e32 v18, v14
	;; [unrolled: 1-line block ×4, first 2 shown]
	global_store_dwordx2 v[28:29], v[18:19], off
	v_pk_fma_f32 v[16:17], v[16:17], s[2:3], v[64:65] op_sel_hi:[1,0,1] neg_lo:[0,0,1] neg_hi:[0,0,1]
	v_pk_fma_f32 v[18:19], v[24:25], s[12:13], v[60:61] op_sel_hi:[1,0,1] neg_lo:[0,0,1] neg_hi:[0,0,1]
	v_pk_fma_f32 v[16:17], v[58:59], s[0:1], v[16:17] op_sel_hi:[1,0,1]
	v_pk_add_f32 v[12:13], v[18:19], v[12:13]
	v_lshl_add_u64 v[30:31], v[30:31], 3, v[40:41]
	v_pk_add_f32 v[18:19], v[12:13], v[16:17]
	v_pk_add_f32 v[12:13], v[12:13], v[16:17] neg_lo:[0,1] neg_hi:[0,1]
	v_mov_b32_e32 v17, v19
	v_mov_b32_e32 v16, v12
	v_add_u32_e32 v12, 0x126, v159
	v_mov_b32_e32 v19, v13
	v_mul_hi_u32 v13, v12, s3
	v_lshl_add_u64 v[32:33], v[32:33], 3, v[40:41]
	v_lshl_add_u64 v[34:35], v[34:35], 3, v[40:41]
	v_mov_b32_e32 v27, v15
	v_lshrrev_b32_e32 v13, 8, v13
	global_store_dwordx2 v[30:31], v[16:17], off
	global_store_dwordx2 v[32:33], v[18:19], off
	;; [unrolled: 1-line block ×3, first 2 shown]
	v_mad_u32_u24 v26, v13, s1, v12
	v_mad_u64_u32 v[12:13], s[18:19], s8, v26, 0
	v_mov_b32_e32 v14, v13
	v_mad_u64_u32 v[14:15], s[18:19], s9, v26, v[14:15]
	v_add_u32_e32 v17, 0x157, v26
	v_mov_b32_e32 v13, v14
	v_mad_u64_u32 v[14:15], s[18:19], s8, v17, 0
	v_mov_b32_e32 v16, v15
	v_mad_u64_u32 v[16:17], s[18:19], s9, v17, v[16:17]
	v_add_u32_e32 v19, 0x2ae, v26
	v_mov_b32_e32 v15, v16
	;; [unrolled: 5-line block ×3, first 2 shown]
	v_mad_u64_u32 v[18:19], s[18:19], s8, v21, 0
	v_mov_b32_e32 v20, v19
	v_mov_b32_e32 v63, v23
	v_mad_u64_u32 v[20:21], s[18:19], s9, v21, v[20:21]
	v_add_u32_e32 v23, 0x55c, v26
	v_mov_b32_e32 v19, v20
	v_mad_u64_u32 v[20:21], s[18:19], s8, v23, 0
	v_mov_b32_e32 v22, v21
	v_mad_u64_u32 v[22:23], s[18:19], s9, v23, v[22:23]
	v_add_u32_e32 v25, 0x6b3, v26
	v_mov_b32_e32 v21, v22
	v_mad_u64_u32 v[22:23], s[18:19], s8, v25, 0
	;; [unrolled: 5-line block ×3, first 2 shown]
	v_mov_b32_e32 v26, v25
	v_mad_u64_u32 v[26:27], s[8:9], s9, v27, v[26:27]
	v_mul_f32_e32 v93, v7, v87
	v_mov_b32_e32 v25, v26
	v_mov_b32_e32 v26, v5
	v_mov_b32_e32 v28, v5
	v_mov_b32_e32 v47, v44
	v_mov_b32_e32 v5, v9
	v_mov_b32_e32 v32, v9
	v_mov_b32_e32 v45, v53
	v_mov_b32_e32 v9, v7
	v_fmac_f32_e32 v93, v53, v6
	v_mov_b32_e32 v29, v8
	v_mov_b32_e32 v91, v84
	v_pk_mul_f32 v[4:5], v[46:47], v[4:5]
	v_mov_b32_e32 v33, v6
	v_mov_b32_e32 v85, v87
	v_pk_mul_f32 v[6:7], v[44:45], v[8:9]
	v_pk_fma_f32 v[26:27], v[26:27], v[90:91], v[4:5]
	v_pk_fma_f32 v[4:5], v[28:29], v[90:91], v[4:5] neg_lo:[0,0,1] neg_hi:[0,0,1]
	v_pk_fma_f32 v[8:9], v[32:33], v[84:85], v[6:7]
	v_pk_fma_f32 v[6:7], v[32:33], v[84:85], v[6:7] neg_lo:[0,0,1] neg_hi:[0,0,1]
	v_mul_f32_e32 v43, v1, v80
	v_mov_b32_e32 v4, v3
	v_mov_b32_e32 v28, v3
	v_mov_b32_e32 v50, v55
	v_mov_b32_e32 v3, v11
	v_mov_b32_e32 v6, v11
	v_mov_b32_e32 v34, v51
	v_mov_b32_e32 v35, v42
	v_mov_b32_e32 v11, v1
	v_fmac_f32_e32 v43, v42, v0
	v_mov_b32_e32 v29, v10
	v_mov_b32_e32 v30, v89
	;; [unrolled: 1-line block ×3, first 2 shown]
	v_pk_mul_f32 v[2:3], v[50:51], v[2:3]
	v_mov_b32_e32 v9, v7
	v_mov_b32_e32 v7, v0
	;; [unrolled: 1-line block ×4, first 2 shown]
	v_pk_mul_f32 v[0:1], v[34:35], v[10:11]
	v_pk_fma_f32 v[30:31], v[4:5], v[30:31], v[2:3]
	v_pk_fma_f32 v[2:3], v[28:29], v[82:83], v[2:3] neg_lo:[0,0,1] neg_hi:[0,0,1]
	v_pk_fma_f32 v[10:11], v[6:7], v[32:33], v[0:1]
	v_pk_fma_f32 v[0:1], v[6:7], v[32:33], v[0:1] neg_lo:[0,0,1] neg_hi:[0,0,1]
	v_mov_b32_e32 v27, v5
	v_mov_b32_e32 v31, v3
	;; [unrolled: 1-line block ×3, first 2 shown]
	v_pk_add_f32 v[0:1], v[10:11], v[8:9]
	v_pk_add_f32 v[6:7], v[30:31], v[26:27]
	v_add_f32_e32 v81, v98, v96
	v_add_f32_e32 v94, v43, v93
	v_mov_b32_e32 v95, v7
	v_mov_b32_e32 v80, v0
	v_pk_add_f32 v[28:29], v[30:31], v[26:27] neg_lo:[0,1] neg_hi:[0,1]
	v_pk_add_f32 v[26:27], v[94:95], v[80:81] neg_lo:[0,1] neg_hi:[0,1]
	v_mov_b32_e32 v95, v1
	v_mov_b32_e32 v80, v6
	v_pk_add_f32 v[30:31], v[0:1], v[6:7] neg_lo:[0,1] neg_hi:[0,1]
	v_pk_add_f32 v[34:35], v[94:95], v[80:81]
	v_mov_b32_e32 v1, v7
	v_mov_b32_e32 v42, v3
	;; [unrolled: 1-line block ×5, first 2 shown]
	v_pk_add_f32 v[0:1], v[0:1], v[34:35]
	v_pk_add_f32 v[34:35], v[10:11], v[8:9] neg_lo:[0,1] neg_hi:[0,1]
	v_pk_add_f32 v[2:3], v[42:43], v[92:93] neg_lo:[0,1] neg_hi:[0,1]
	v_pk_add_f32 v[4:5], v[98:99], v[96:97] neg_lo:[0,1] neg_hi:[0,1]
	v_mov_b32_e32 v8, v35
	v_mov_b32_e32 v9, v5
	;; [unrolled: 1-line block ×4, first 2 shown]
	v_pk_add_f32 v[8:9], v[8:9], v[10:11] neg_lo:[0,1] neg_hi:[0,1]
	v_pk_add_f32 v[10:11], v[2:3], v[4:5] neg_lo:[0,1] neg_hi:[0,1]
	v_mov_b32_e32 v38, v2
	v_mov_b32_e32 v39, v5
	v_mov_b32_e32 v5, v28
	v_lshl_add_u64 v[36:37], v[36:37], 3, v[40:41]
	v_pk_mul_f32 v[26:27], v[26:27], s[10:11]
	v_pk_add_f32 v[6:7], v[48:49], v[0:1]
	v_pk_mul_f32 v[8:9], v[8:9], s[6:7]
	v_pk_add_f32 v[28:29], v[38:39], v[4:5]
	v_mov_b32_e32 v2, v35
	global_store_dwordx2 v[36:37], v[62:63], off
	v_pk_mul_f32 v[32:33], v[30:31], s[4:5]
	v_pk_fma_f32 v[30:31], v[30:31], s[4:5], v[26:27]
	v_pk_fma_f32 v[0:1], v[0:1], s[14:15], v[6:7] op_sel_hi:[1,0,1] neg_lo:[1,0,0] neg_hi:[1,0,0]
	v_pk_mul_f32 v[36:37], v[10:11], s[16:17]
	v_pk_fma_f32 v[10:11], v[10:11], s[16:17], v[8:9]
	v_pk_add_f32 v[28:29], v[2:3], v[28:29]
	v_pk_add_f32 v[30:31], v[30:31], v[0:1]
	v_pk_fma_f32 v[10:11], v[28:29], s[0:1], v[10:11] op_sel_hi:[1,0,1]
	v_lshl_add_u64 v[12:13], v[12:13], 3, v[40:41]
	v_pk_add_f32 v[34:35], v[30:31], v[10:11] neg_lo:[0,1] neg_hi:[0,1]
	v_pk_add_f32 v[10:11], v[30:31], v[10:11]
	v_lshl_add_u64 v[14:15], v[14:15], 3, v[40:41]
	global_store_dwordx2 v[12:13], v[6:7], off
	v_mov_b32_e32 v6, v10
	v_mov_b32_e32 v7, v35
	global_store_dwordx2 v[14:15], v[6:7], off
	v_mov_b32_e32 v6, v26
	v_mov_b32_e32 v7, v33
	v_pk_add_f32 v[12:13], v[80:81], v[94:95] neg_lo:[0,1] neg_hi:[0,1]
	v_pk_add_f32 v[2:3], v[4:5], v[2:3] neg_lo:[0,1] neg_hi:[0,1]
	v_mov_b32_e32 v4, v8
	v_mov_b32_e32 v5, v37
	v_pk_fma_f32 v[6:7], v[12:13], s[12:13], v[6:7] op_sel_hi:[1,0,1] neg_lo:[1,0,1] neg_hi:[1,0,1]
	v_pk_fma_f32 v[4:5], v[2:3], s[2:3], v[4:5] op_sel_hi:[1,0,1] neg_lo:[1,0,1] neg_hi:[1,0,1]
	v_pk_add_f32 v[6:7], v[6:7], v[0:1]
	v_pk_fma_f32 v[4:5], v[28:29], s[0:1], v[4:5] op_sel_hi:[1,0,1]
	v_lshl_add_u64 v[16:17], v[16:17], 3, v[40:41]
	v_pk_add_f32 v[14:15], v[6:7], v[4:5] neg_lo:[0,1] neg_hi:[0,1]
	v_pk_add_f32 v[4:5], v[6:7], v[4:5]
	v_mov_b32_e32 v7, v15
	v_mov_b32_e32 v6, v4
	;; [unrolled: 1-line block ×4, first 2 shown]
	global_store_dwordx2 v[16:17], v[6:7], off
	v_pk_fma_f32 v[2:3], v[2:3], s[2:3], v[36:37] op_sel_hi:[1,0,1] neg_lo:[0,0,1] neg_hi:[0,0,1]
	v_pk_fma_f32 v[6:7], v[12:13], s[12:13], v[32:33] op_sel_hi:[1,0,1] neg_lo:[0,0,1] neg_hi:[0,0,1]
	v_pk_fma_f32 v[2:3], v[28:29], s[0:1], v[2:3] op_sel_hi:[1,0,1]
	v_pk_add_f32 v[0:1], v[6:7], v[0:1]
	v_lshl_add_u64 v[18:19], v[18:19], 3, v[40:41]
	v_pk_add_f32 v[6:7], v[0:1], v[2:3]
	v_pk_add_f32 v[0:1], v[0:1], v[2:3] neg_lo:[0,1] neg_hi:[0,1]
	v_lshl_add_u64 v[20:21], v[20:21], 3, v[40:41]
	v_lshl_add_u64 v[22:23], v[22:23], 3, v[40:41]
	v_lshl_add_u64 v[24:25], v[24:25], 3, v[40:41]
	v_mov_b32_e32 v2, v0
	v_mov_b32_e32 v3, v7
	;; [unrolled: 1-line block ×5, first 2 shown]
	global_store_dwordx2 v[18:19], v[2:3], off
	global_store_dwordx2 v[20:21], v[6:7], off
	;; [unrolled: 1-line block ×4, first 2 shown]
.LBB0_15:
	s_endpgm
	.section	.rodata,"a",@progbits
	.p2align	6, 0x0
	.amdhsa_kernel fft_rtc_back_len2401_factors_7_7_7_7_wgs_49_tpt_49_halfLds_sp_ip_CI_sbrr_dirReg
		.amdhsa_group_segment_fixed_size 0
		.amdhsa_private_segment_fixed_size 0
		.amdhsa_kernarg_size 88
		.amdhsa_user_sgpr_count 2
		.amdhsa_user_sgpr_dispatch_ptr 0
		.amdhsa_user_sgpr_queue_ptr 0
		.amdhsa_user_sgpr_kernarg_segment_ptr 1
		.amdhsa_user_sgpr_dispatch_id 0
		.amdhsa_user_sgpr_kernarg_preload_length 0
		.amdhsa_user_sgpr_kernarg_preload_offset 0
		.amdhsa_user_sgpr_private_segment_size 0
		.amdhsa_uses_dynamic_stack 0
		.amdhsa_enable_private_segment 0
		.amdhsa_system_sgpr_workgroup_id_x 1
		.amdhsa_system_sgpr_workgroup_id_y 0
		.amdhsa_system_sgpr_workgroup_id_z 0
		.amdhsa_system_sgpr_workgroup_info 0
		.amdhsa_system_vgpr_workitem_id 0
		.amdhsa_next_free_vgpr 188
		.amdhsa_next_free_sgpr 24
		.amdhsa_accum_offset 188
		.amdhsa_reserve_vcc 1
		.amdhsa_float_round_mode_32 0
		.amdhsa_float_round_mode_16_64 0
		.amdhsa_float_denorm_mode_32 3
		.amdhsa_float_denorm_mode_16_64 3
		.amdhsa_dx10_clamp 1
		.amdhsa_ieee_mode 1
		.amdhsa_fp16_overflow 0
		.amdhsa_tg_split 0
		.amdhsa_exception_fp_ieee_invalid_op 0
		.amdhsa_exception_fp_denorm_src 0
		.amdhsa_exception_fp_ieee_div_zero 0
		.amdhsa_exception_fp_ieee_overflow 0
		.amdhsa_exception_fp_ieee_underflow 0
		.amdhsa_exception_fp_ieee_inexact 0
		.amdhsa_exception_int_div_zero 0
	.end_amdhsa_kernel
	.text
.Lfunc_end0:
	.size	fft_rtc_back_len2401_factors_7_7_7_7_wgs_49_tpt_49_halfLds_sp_ip_CI_sbrr_dirReg, .Lfunc_end0-fft_rtc_back_len2401_factors_7_7_7_7_wgs_49_tpt_49_halfLds_sp_ip_CI_sbrr_dirReg
                                        ; -- End function
	.section	.AMDGPU.csdata,"",@progbits
; Kernel info:
; codeLenInByte = 27312
; NumSgprs: 30
; NumVgprs: 188
; NumAgprs: 0
; TotalNumVgprs: 188
; ScratchSize: 0
; MemoryBound: 0
; FloatMode: 240
; IeeeMode: 1
; LDSByteSize: 0 bytes/workgroup (compile time only)
; SGPRBlocks: 3
; VGPRBlocks: 23
; NumSGPRsForWavesPerEU: 30
; NumVGPRsForWavesPerEU: 188
; AccumOffset: 188
; Occupancy: 2
; WaveLimiterHint : 1
; COMPUTE_PGM_RSRC2:SCRATCH_EN: 0
; COMPUTE_PGM_RSRC2:USER_SGPR: 2
; COMPUTE_PGM_RSRC2:TRAP_HANDLER: 0
; COMPUTE_PGM_RSRC2:TGID_X_EN: 1
; COMPUTE_PGM_RSRC2:TGID_Y_EN: 0
; COMPUTE_PGM_RSRC2:TGID_Z_EN: 0
; COMPUTE_PGM_RSRC2:TIDIG_COMP_CNT: 0
; COMPUTE_PGM_RSRC3_GFX90A:ACCUM_OFFSET: 46
; COMPUTE_PGM_RSRC3_GFX90A:TG_SPLIT: 0
	.text
	.p2alignl 6, 3212836864
	.fill 256, 4, 3212836864
	.type	__hip_cuid_139f82efacd2e27b,@object ; @__hip_cuid_139f82efacd2e27b
	.section	.bss,"aw",@nobits
	.globl	__hip_cuid_139f82efacd2e27b
__hip_cuid_139f82efacd2e27b:
	.byte	0                               ; 0x0
	.size	__hip_cuid_139f82efacd2e27b, 1

	.ident	"AMD clang version 19.0.0git (https://github.com/RadeonOpenCompute/llvm-project roc-6.4.0 25133 c7fe45cf4b819c5991fe208aaa96edf142730f1d)"
	.section	".note.GNU-stack","",@progbits
	.addrsig
	.addrsig_sym __hip_cuid_139f82efacd2e27b
	.amdgpu_metadata
---
amdhsa.kernels:
  - .agpr_count:     0
    .args:
      - .actual_access:  read_only
        .address_space:  global
        .offset:         0
        .size:           8
        .value_kind:     global_buffer
      - .offset:         8
        .size:           8
        .value_kind:     by_value
      - .actual_access:  read_only
        .address_space:  global
        .offset:         16
        .size:           8
        .value_kind:     global_buffer
      - .actual_access:  read_only
        .address_space:  global
        .offset:         24
        .size:           8
        .value_kind:     global_buffer
      - .offset:         32
        .size:           8
        .value_kind:     by_value
      - .actual_access:  read_only
        .address_space:  global
        .offset:         40
        .size:           8
        .value_kind:     global_buffer
      - .actual_access:  read_only
        .address_space:  global
        .offset:         48
        .size:           8
        .value_kind:     global_buffer
      - .offset:         56
        .size:           4
        .value_kind:     by_value
      - .actual_access:  read_only
        .address_space:  global
        .offset:         64
        .size:           8
        .value_kind:     global_buffer
      - .actual_access:  read_only
        .address_space:  global
        .offset:         72
        .size:           8
        .value_kind:     global_buffer
      - .address_space:  global
        .offset:         80
        .size:           8
        .value_kind:     global_buffer
    .group_segment_fixed_size: 0
    .kernarg_segment_align: 8
    .kernarg_segment_size: 88
    .language:       OpenCL C
    .language_version:
      - 2
      - 0
    .max_flat_workgroup_size: 49
    .name:           fft_rtc_back_len2401_factors_7_7_7_7_wgs_49_tpt_49_halfLds_sp_ip_CI_sbrr_dirReg
    .private_segment_fixed_size: 0
    .sgpr_count:     30
    .sgpr_spill_count: 0
    .symbol:         fft_rtc_back_len2401_factors_7_7_7_7_wgs_49_tpt_49_halfLds_sp_ip_CI_sbrr_dirReg.kd
    .uniform_work_group_size: 1
    .uses_dynamic_stack: false
    .vgpr_count:     188
    .vgpr_spill_count: 0
    .wavefront_size: 64
amdhsa.target:   amdgcn-amd-amdhsa--gfx950
amdhsa.version:
  - 1
  - 2
...

	.end_amdgpu_metadata
